;; amdgpu-corpus repo=ROCm/rocFFT kind=compiled arch=gfx1030 opt=O3
	.text
	.amdgcn_target "amdgcn-amd-amdhsa--gfx1030"
	.amdhsa_code_object_version 6
	.protected	fft_rtc_fwd_len480_factors_10_8_6_wgs_64_tpt_16_halfLds_dp_op_CI_CI_unitstride_sbrr_dirReg ; -- Begin function fft_rtc_fwd_len480_factors_10_8_6_wgs_64_tpt_16_halfLds_dp_op_CI_CI_unitstride_sbrr_dirReg
	.globl	fft_rtc_fwd_len480_factors_10_8_6_wgs_64_tpt_16_halfLds_dp_op_CI_CI_unitstride_sbrr_dirReg
	.p2align	8
	.type	fft_rtc_fwd_len480_factors_10_8_6_wgs_64_tpt_16_halfLds_dp_op_CI_CI_unitstride_sbrr_dirReg,@function
fft_rtc_fwd_len480_factors_10_8_6_wgs_64_tpt_16_halfLds_dp_op_CI_CI_unitstride_sbrr_dirReg: ; @fft_rtc_fwd_len480_factors_10_8_6_wgs_64_tpt_16_halfLds_dp_op_CI_CI_unitstride_sbrr_dirReg
; %bb.0:
	s_clause 0x2
	s_load_dwordx4 s[12:15], s[4:5], 0x0
	s_load_dwordx4 s[8:11], s[4:5], 0x58
	;; [unrolled: 1-line block ×3, first 2 shown]
	v_lshrrev_b32_e32 v7, 4, v0
	v_mov_b32_e32 v3, 0
	v_mov_b32_e32 v1, 0
	;; [unrolled: 1-line block ×3, first 2 shown]
	v_lshl_or_b32 v5, s6, 2, v7
	v_mov_b32_e32 v6, v3
	s_waitcnt lgkmcnt(0)
	v_cmp_lt_u64_e64 s0, s[14:15], 2
	s_and_b32 vcc_lo, exec_lo, s0
	s_cbranch_vccnz .LBB0_8
; %bb.1:
	s_load_dwordx2 s[0:1], s[4:5], 0x10
	v_mov_b32_e32 v1, 0
	v_mov_b32_e32 v2, 0
	s_add_u32 s2, s18, 8
	s_addc_u32 s3, s19, 0
	s_add_u32 s6, s16, 8
	s_addc_u32 s7, s17, 0
	v_mov_b32_e32 v167, v2
	v_mov_b32_e32 v166, v1
	s_mov_b64 s[22:23], 1
	s_waitcnt lgkmcnt(0)
	s_add_u32 s20, s0, 8
	s_addc_u32 s21, s1, 0
.LBB0_2:                                ; =>This Inner Loop Header: Depth=1
	s_load_dwordx2 s[24:25], s[20:21], 0x0
                                        ; implicit-def: $vgpr168_vgpr169
	s_mov_b32 s0, exec_lo
	s_waitcnt lgkmcnt(0)
	v_or_b32_e32 v4, s25, v6
	v_cmpx_ne_u64_e32 0, v[3:4]
	s_xor_b32 s1, exec_lo, s0
	s_cbranch_execz .LBB0_4
; %bb.3:                                ;   in Loop: Header=BB0_2 Depth=1
	v_cvt_f32_u32_e32 v4, s24
	v_cvt_f32_u32_e32 v8, s25
	s_sub_u32 s0, 0, s24
	s_subb_u32 s26, 0, s25
	v_fmac_f32_e32 v4, 0x4f800000, v8
	v_rcp_f32_e32 v4, v4
	v_mul_f32_e32 v4, 0x5f7ffffc, v4
	v_mul_f32_e32 v8, 0x2f800000, v4
	v_trunc_f32_e32 v8, v8
	v_fmac_f32_e32 v4, 0xcf800000, v8
	v_cvt_u32_f32_e32 v8, v8
	v_cvt_u32_f32_e32 v4, v4
	v_mul_lo_u32 v9, s0, v8
	v_mul_hi_u32 v10, s0, v4
	v_mul_lo_u32 v11, s26, v4
	v_add_nc_u32_e32 v9, v10, v9
	v_mul_lo_u32 v10, s0, v4
	v_add_nc_u32_e32 v9, v9, v11
	v_mul_hi_u32 v11, v4, v10
	v_mul_lo_u32 v12, v4, v9
	v_mul_hi_u32 v13, v4, v9
	v_mul_hi_u32 v14, v8, v10
	v_mul_lo_u32 v10, v8, v10
	v_mul_hi_u32 v15, v8, v9
	v_mul_lo_u32 v9, v8, v9
	v_add_co_u32 v11, vcc_lo, v11, v12
	v_add_co_ci_u32_e32 v12, vcc_lo, 0, v13, vcc_lo
	v_add_co_u32 v10, vcc_lo, v11, v10
	v_add_co_ci_u32_e32 v10, vcc_lo, v12, v14, vcc_lo
	v_add_co_ci_u32_e32 v11, vcc_lo, 0, v15, vcc_lo
	v_add_co_u32 v9, vcc_lo, v10, v9
	v_add_co_ci_u32_e32 v10, vcc_lo, 0, v11, vcc_lo
	v_add_co_u32 v4, vcc_lo, v4, v9
	v_add_co_ci_u32_e32 v8, vcc_lo, v8, v10, vcc_lo
	v_mul_hi_u32 v9, s0, v4
	v_mul_lo_u32 v11, s26, v4
	v_mul_lo_u32 v10, s0, v8
	v_add_nc_u32_e32 v9, v9, v10
	v_mul_lo_u32 v10, s0, v4
	v_add_nc_u32_e32 v9, v9, v11
	v_mul_hi_u32 v11, v4, v10
	v_mul_lo_u32 v12, v4, v9
	v_mul_hi_u32 v13, v4, v9
	v_mul_hi_u32 v14, v8, v10
	v_mul_lo_u32 v10, v8, v10
	v_mul_hi_u32 v15, v8, v9
	v_mul_lo_u32 v9, v8, v9
	v_add_co_u32 v11, vcc_lo, v11, v12
	v_add_co_ci_u32_e32 v12, vcc_lo, 0, v13, vcc_lo
	v_add_co_u32 v10, vcc_lo, v11, v10
	v_add_co_ci_u32_e32 v10, vcc_lo, v12, v14, vcc_lo
	v_add_co_ci_u32_e32 v11, vcc_lo, 0, v15, vcc_lo
	v_add_co_u32 v9, vcc_lo, v10, v9
	v_add_co_ci_u32_e32 v10, vcc_lo, 0, v11, vcc_lo
	v_add_co_u32 v4, vcc_lo, v4, v9
	v_add_co_ci_u32_e32 v12, vcc_lo, v8, v10, vcc_lo
	v_mul_hi_u32 v14, v5, v4
	v_mad_u64_u32 v[10:11], null, v6, v4, 0
	v_mad_u64_u32 v[8:9], null, v5, v12, 0
	;; [unrolled: 1-line block ×3, first 2 shown]
	v_add_co_u32 v4, vcc_lo, v14, v8
	v_add_co_ci_u32_e32 v8, vcc_lo, 0, v9, vcc_lo
	v_add_co_u32 v4, vcc_lo, v4, v10
	v_add_co_ci_u32_e32 v4, vcc_lo, v8, v11, vcc_lo
	v_add_co_ci_u32_e32 v8, vcc_lo, 0, v13, vcc_lo
	v_add_co_u32 v4, vcc_lo, v4, v12
	v_add_co_ci_u32_e32 v10, vcc_lo, 0, v8, vcc_lo
	v_mul_lo_u32 v11, s25, v4
	v_mad_u64_u32 v[8:9], null, s24, v4, 0
	v_mul_lo_u32 v12, s24, v10
	v_sub_co_u32 v8, vcc_lo, v5, v8
	v_add3_u32 v9, v9, v12, v11
	v_sub_nc_u32_e32 v11, v6, v9
	v_subrev_co_ci_u32_e64 v11, s0, s25, v11, vcc_lo
	v_add_co_u32 v12, s0, v4, 2
	v_add_co_ci_u32_e64 v13, s0, 0, v10, s0
	v_sub_co_u32 v14, s0, v8, s24
	v_sub_co_ci_u32_e32 v9, vcc_lo, v6, v9, vcc_lo
	v_subrev_co_ci_u32_e64 v11, s0, 0, v11, s0
	v_cmp_le_u32_e32 vcc_lo, s24, v14
	v_cmp_eq_u32_e64 s0, s25, v9
	v_cndmask_b32_e64 v14, 0, -1, vcc_lo
	v_cmp_le_u32_e32 vcc_lo, s25, v11
	v_cndmask_b32_e64 v15, 0, -1, vcc_lo
	v_cmp_le_u32_e32 vcc_lo, s24, v8
	;; [unrolled: 2-line block ×3, first 2 shown]
	v_cndmask_b32_e64 v16, 0, -1, vcc_lo
	v_cmp_eq_u32_e32 vcc_lo, s25, v11
	v_cndmask_b32_e64 v8, v16, v8, s0
	v_cndmask_b32_e32 v11, v15, v14, vcc_lo
	v_add_co_u32 v14, vcc_lo, v4, 1
	v_add_co_ci_u32_e32 v15, vcc_lo, 0, v10, vcc_lo
	v_cmp_ne_u32_e32 vcc_lo, 0, v11
	v_cndmask_b32_e32 v9, v15, v13, vcc_lo
	v_cndmask_b32_e32 v11, v14, v12, vcc_lo
	v_cmp_ne_u32_e32 vcc_lo, 0, v8
	v_cndmask_b32_e32 v169, v10, v9, vcc_lo
	v_cndmask_b32_e32 v168, v4, v11, vcc_lo
.LBB0_4:                                ;   in Loop: Header=BB0_2 Depth=1
	s_andn2_saveexec_b32 s0, s1
	s_cbranch_execz .LBB0_6
; %bb.5:                                ;   in Loop: Header=BB0_2 Depth=1
	v_cvt_f32_u32_e32 v4, s24
	s_sub_i32 s1, 0, s24
	v_mov_b32_e32 v169, v3
	v_rcp_iflag_f32_e32 v4, v4
	v_mul_f32_e32 v4, 0x4f7ffffe, v4
	v_cvt_u32_f32_e32 v4, v4
	v_mul_lo_u32 v8, s1, v4
	v_mul_hi_u32 v8, v4, v8
	v_add_nc_u32_e32 v4, v4, v8
	v_mul_hi_u32 v4, v5, v4
	v_mul_lo_u32 v8, v4, s24
	v_add_nc_u32_e32 v9, 1, v4
	v_sub_nc_u32_e32 v8, v5, v8
	v_subrev_nc_u32_e32 v10, s24, v8
	v_cmp_le_u32_e32 vcc_lo, s24, v8
	v_cndmask_b32_e32 v8, v8, v10, vcc_lo
	v_cndmask_b32_e32 v4, v4, v9, vcc_lo
	v_cmp_le_u32_e32 vcc_lo, s24, v8
	v_add_nc_u32_e32 v9, 1, v4
	v_cndmask_b32_e32 v168, v4, v9, vcc_lo
.LBB0_6:                                ;   in Loop: Header=BB0_2 Depth=1
	s_or_b32 exec_lo, exec_lo, s0
	v_mul_lo_u32 v4, v169, s24
	v_mul_lo_u32 v10, v168, s25
	s_load_dwordx2 s[0:1], s[6:7], 0x0
	v_mad_u64_u32 v[8:9], null, v168, s24, 0
	s_load_dwordx2 s[24:25], s[2:3], 0x0
	s_add_u32 s22, s22, 1
	s_addc_u32 s23, s23, 0
	s_add_u32 s2, s2, 8
	s_addc_u32 s3, s3, 0
	s_add_u32 s6, s6, 8
	v_add3_u32 v4, v9, v10, v4
	v_sub_co_u32 v5, vcc_lo, v5, v8
	s_addc_u32 s7, s7, 0
	s_add_u32 s20, s20, 8
	v_sub_co_ci_u32_e32 v4, vcc_lo, v6, v4, vcc_lo
	s_addc_u32 s21, s21, 0
	s_waitcnt lgkmcnt(0)
	v_mul_lo_u32 v6, s0, v4
	v_mul_lo_u32 v8, s1, v5
	v_mad_u64_u32 v[1:2], null, s0, v5, v[1:2]
	v_mul_lo_u32 v4, s24, v4
	v_mul_lo_u32 v9, s25, v5
	v_mad_u64_u32 v[166:167], null, s24, v5, v[166:167]
	v_cmp_ge_u64_e64 s0, s[22:23], s[14:15]
	v_add3_u32 v2, v8, v2, v6
	v_add3_u32 v167, v9, v167, v4
	s_and_b32 vcc_lo, exec_lo, s0
	s_cbranch_vccnz .LBB0_9
; %bb.7:                                ;   in Loop: Header=BB0_2 Depth=1
	v_mov_b32_e32 v5, v168
	v_mov_b32_e32 v6, v169
	s_branch .LBB0_2
.LBB0_8:
	v_mov_b32_e32 v167, v2
	v_mov_b32_e32 v169, v6
	;; [unrolled: 1-line block ×4, first 2 shown]
.LBB0_9:
	s_load_dwordx2 s[0:1], s[4:5], 0x28
	s_lshl_b64 s[4:5], s[14:15], 3
	v_and_b32_e32 v204, 15, v0
	s_add_u32 s2, s18, s4
	s_addc_u32 s3, s19, s5
                                        ; implicit-def: $vgpr205
                                        ; implicit-def: $vgpr206
                                        ; implicit-def: $vgpr207
	s_waitcnt lgkmcnt(0)
	v_cmp_gt_u64_e32 vcc_lo, s[0:1], v[168:169]
	v_cmp_le_u64_e64 s0, s[0:1], v[168:169]
	s_and_saveexec_b32 s1, s0
	s_xor_b32 s0, exec_lo, s1
; %bb.10:
	v_and_b32_e32 v204, 15, v0
                                        ; implicit-def: $vgpr1_vgpr2
	v_or_b32_e32 v205, 16, v204
	v_or_b32_e32 v206, 32, v204
	v_or_b32_e32 v207, 48, v204
; %bb.11:
	s_or_saveexec_b32 s1, s0
                                        ; implicit-def: $vgpr156_vgpr157
                                        ; implicit-def: $vgpr60_vgpr61
                                        ; implicit-def: $vgpr22_vgpr23
                                        ; implicit-def: $vgpr18_vgpr19
                                        ; implicit-def: $vgpr26_vgpr27
                                        ; implicit-def: $vgpr144_vgpr145
                                        ; implicit-def: $vgpr148_vgpr149
                                        ; implicit-def: $vgpr46_vgpr47
                                        ; implicit-def: $vgpr42_vgpr43
                                        ; implicit-def: $vgpr68_vgpr69
                                        ; implicit-def: $vgpr122_vgpr123
                                        ; implicit-def: $vgpr136_vgpr137
                                        ; implicit-def: $vgpr108_vgpr109
                                        ; implicit-def: $vgpr92_vgpr93
                                        ; implicit-def: $vgpr82_vgpr83
                                        ; implicit-def: $vgpr74_vgpr75
                                        ; implicit-def: $vgpr104_vgpr105
                                        ; implicit-def: $vgpr116_vgpr117
                                        ; implicit-def: $vgpr132_vgpr133
                                        ; implicit-def: $vgpr128_vgpr129
                                        ; implicit-def: $vgpr86_vgpr87
                                        ; implicit-def: $vgpr50_vgpr51
                                        ; implicit-def: $vgpr54_vgpr55
                                        ; implicit-def: $vgpr64_vgpr65
                                        ; implicit-def: $vgpr140_vgpr141
                                        ; implicit-def: $vgpr30_vgpr31
                                        ; implicit-def: $vgpr38_vgpr39
                                        ; implicit-def: $vgpr34_vgpr35
                                        ; implicit-def: $vgpr160_vgpr161
                                        ; implicit-def: $vgpr152_vgpr153
	s_xor_b32 exec_lo, exec_lo, s1
	s_cbranch_execz .LBB0_13
; %bb.12:
	s_add_u32 s4, s16, s4
	s_addc_u32 s5, s17, s5
	v_lshlrev_b32_e32 v6, 4, v204
	s_load_dwordx2 s[4:5], s[4:5], 0x0
	v_or_b32_e32 v207, 48, v204
	v_or_b32_e32 v205, 16, v204
	;; [unrolled: 1-line block ×11, first 2 shown]
	s_waitcnt lgkmcnt(0)
	v_mul_lo_u32 v0, s5, v168
	v_mul_lo_u32 v5, s4, v169
	v_mad_u64_u32 v[3:4], null, s4, v168, 0
	v_add3_u32 v4, v4, v5, v0
	v_lshlrev_b64 v[0:1], 4, v[1:2]
	v_or_b32_e32 v5, 0x900, v6
	v_lshlrev_b64 v[2:3], 4, v[3:4]
	v_or_b32_e32 v4, 0xc00, v6
	v_add_co_u32 v2, s0, s8, v2
	v_add_co_ci_u32_e64 v3, s0, s9, v3, s0
	v_add_co_u32 v66, s0, v2, v0
	v_add_co_ci_u32_e64 v67, s0, v3, v1, s0
	;; [unrolled: 2-line block ×8, first 2 shown]
	v_add_co_u32 v14, s0, v66, v14
	s_clause 0x3
	global_load_dwordx4 v[58:61], v[2:3], off
	global_load_dwordx4 v[20:23], v[4:5], off
	;; [unrolled: 1-line block ×4, first 2 shown]
	v_or_b32_e32 v4, 0xa00, v6
	v_add_co_ci_u32_e64 v15, s0, 0, v67, s0
	v_add_co_u32 v2, s0, v66, v24
	v_add_co_ci_u32_e64 v3, s0, 0, v67, s0
	v_add_co_u32 v4, s0, v66, v4
	v_add_co_ci_u32_e64 v5, s0, 0, v67, s0
	v_or_b32_e32 v8, 0xd00, v6
	s_clause 0x3
	global_load_dwordx4 v[36:39], v[12:13], off
	global_load_dwordx4 v[28:31], v[14:15], off
	;; [unrolled: 1-line block ×4, first 2 shown]
	v_or_b32_e32 v4, 0x1000, v6
	v_or_b32_e32 v10, 0x1600, v6
	v_add_co_u32 v2, s0, v66, v8
	v_or_b32_e32 v8, 0x1300, v6
	v_add_co_ci_u32_e64 v3, s0, 0, v67, s0
	v_add_co_u32 v4, s0, v66, v4
	v_add_co_ci_u32_e64 v5, s0, 0, v67, s0
	v_add_co_u32 v8, s0, v66, v8
	;; [unrolled: 2-line block ×3, first 2 shown]
	s_clause 0x1
	global_load_dwordx4 v[44:47], v[2:3], off
	global_load_dwordx4 v[52:55], v[4:5], off
	v_or_b32_e32 v2, 0x1900, v6
	v_add_co_ci_u32_e64 v11, s0, 0, v67, s0
	v_or_b32_e32 v4, 0x1c00, v6
	s_clause 0x1
	global_load_dwordx4 v[48:51], v[8:9], off
	global_load_dwordx4 v[40:43], v[10:11], off
	v_add_co_u32 v2, s0, v66, v2
	v_or_b32_e32 v8, 0x800, v6
	v_add_co_ci_u32_e64 v3, s0, 0, v67, s0
	v_add_co_u32 v4, s0, v66, v4
	v_or_b32_e32 v10, 0xb00, v6
	v_add_co_ci_u32_e64 v5, s0, 0, v67, s0
	;; [unrolled: 3-line block ×4, first 2 shown]
	v_add_co_u32 v12, s0, v66, v12
	v_add_co_ci_u32_e64 v13, s0, 0, v67, s0
	v_add_co_u32 v14, s0, v66, v14
	v_add_co_ci_u32_e64 v15, s0, 0, v67, s0
	;; [unrolled: 2-line block ×3, first 2 shown]
	v_add_co_u32 v70, s0, v66, v68
	v_or_b32_e32 v6, 0x1d00, v6
	v_add_co_ci_u32_e64 v71, s0, 0, v67, s0
	v_add_co_u32 v72, s0, v66, v69
	v_add_co_ci_u32_e64 v73, s0, 0, v67, s0
	v_add_co_u32 v74, s0, v66, v6
	v_add_co_ci_u32_e64 v75, s0, 0, v67, s0
	s_clause 0x11
	global_load_dwordx4 v[84:87], v[2:3], off
	global_load_dwordx4 v[66:69], v[4:5], off
	;; [unrolled: 1-line block ×3, first 2 shown]
	global_load_dwordx4 v[138:141], v[0:1], off offset:256
	global_load_dwordx4 v[158:161], v[0:1], off offset:1536
	;; [unrolled: 1-line block ×7, first 2 shown]
	global_load_dwordx4 v[134:137], v[8:9], off
	global_load_dwordx4 v[130:133], v[10:11], off
	;; [unrolled: 1-line block ×8, first 2 shown]
.LBB0_13:
	s_or_b32 exec_lo, exec_lo, s1
	s_waitcnt vmcnt(25)
	v_add_f64 v[0:1], v[36:37], v[32:33]
	s_waitcnt vmcnt(23)
	v_add_f64 v[2:3], v[60:61], v[26:27]
	v_add_f64 v[4:5], v[58:59], v[24:25]
	v_add_f64 v[8:9], v[60:61], -v[26:27]
	v_add_f64 v[10:11], v[38:39], v[34:35]
	v_add_f64 v[12:13], v[32:33], -v[36:37]
	s_mov_b32 s14, 0x134454ff
	s_mov_b32 s15, 0x3fee6f0e
	v_add_f64 v[14:15], v[34:35], -v[38:39]
	v_add_f64 v[56:57], v[58:59], -v[32:33]
	;; [unrolled: 1-line block ×5, first 2 shown]
	v_add_f64 v[98:99], v[20:21], v[16:17]
	s_waitcnt vmcnt(13)
	v_add_f64 v[100:101], v[28:29], v[158:159]
	v_add_f64 v[110:111], v[58:59], -v[24:25]
	s_mov_b32 s8, 0x4755a5e
	s_mov_b32 s5, 0xbfee6f0e
	;; [unrolled: 1-line block ×6, first 2 shown]
	s_waitcnt vmcnt(11)
	v_fma_f64 v[0:1], v[0:1], -0.5, v[154:155]
	v_fma_f64 v[2:3], v[2:3], -0.5, v[156:157]
	;; [unrolled: 1-line block ×3, first 2 shown]
	v_add_f64 v[76:77], v[32:33], -v[58:59]
	v_fma_f64 v[10:11], v[10:11], -0.5, v[156:157]
	v_add_f64 v[78:79], v[36:37], -v[24:25]
	v_add_f64 v[88:89], v[60:61], -v[34:35]
	;; [unrolled: 1-line block ×5, first 2 shown]
	v_add_f64 v[162:163], v[158:159], v[150:151]
	v_add_f64 v[58:59], v[154:155], v[58:59]
	;; [unrolled: 1-line block ×3, first 2 shown]
	v_fma_f64 v[70:71], v[98:99], -0.5, v[150:151]
	v_fma_f64 v[98:99], v[100:101], -0.5, v[150:151]
	v_add_f64 v[94:95], v[96:97], v[94:95]
	s_mov_b32 s16, 0x372fe950
	s_mov_b32 s17, 0x3fd3c6ef
	v_add_f64 v[164:165], v[158:159], -v[20:21]
	v_add_f64 v[170:171], v[28:29], -v[16:17]
	v_add_f64 v[172:173], v[20:21], -v[158:159]
	v_add_f64 v[176:177], v[16:17], -v[28:29]
	v_fma_f64 v[174:175], v[8:9], s[14:15], v[0:1]
	v_fma_f64 v[180:181], v[12:13], s[14:15], v[2:3]
	;; [unrolled: 1-line block ×6, first 2 shown]
	v_add_f64 v[184:185], v[44:45], v[48:49]
	v_add_f64 v[210:211], v[40:41], v[52:53]
	;; [unrolled: 1-line block ×6, first 2 shown]
	v_fma_f64 v[10:11], v[110:111], s[14:15], v[10:11]
	v_fma_f64 v[2:3], v[12:13], s[4:5], v[2:3]
	;; [unrolled: 1-line block ×4, first 2 shown]
	v_add_f64 v[154:155], v[146:147], -v[44:45]
	v_add_f64 v[178:179], v[84:85], -v[48:49]
	v_add_f64 v[192:193], v[146:147], v[84:85]
	v_add_f64 v[212:213], v[66:67], v[62:63]
	v_add_f64 v[218:219], v[42:43], v[54:55]
	s_mov_b32 s18, 0x9b97f4a8
	v_fma_f64 v[150:151], v[14:15], s[8:9], v[174:175]
	v_fma_f64 v[180:181], v[110:111], s[6:7], v[180:181]
	;; [unrolled: 1-line block ×6, first 2 shown]
	s_mov_b32 s19, 0x3fe9e377
	v_add_f64 v[188:189], v[62:63], -v[52:53]
	v_add_f64 v[190:191], v[66:67], -v[40:41]
	;; [unrolled: 1-line block ×3, first 2 shown]
	v_add_f64 v[8:9], v[68:69], v[64:65]
	v_add_f64 v[164:165], v[170:171], v[164:165]
	;; [unrolled: 1-line block ×3, first 2 shown]
	v_fma_f64 v[224:225], v[184:185], -0.5, v[138:139]
	v_fma_f64 v[70:71], v[118:119], s[4:5], v[70:71]
	v_fma_f64 v[98:99], v[124:125], s[14:15], v[98:99]
	v_add_f64 v[88:89], v[16:17], v[88:89]
	v_add_f64 v[58:59], v[36:37], v[58:59]
	v_fma_f64 v[10:11], v[12:13], s[8:9], v[10:11]
	v_fma_f64 v[2:3], v[110:111], s[8:9], v[2:3]
	v_fma_f64 v[12:13], v[124:125], s[8:9], v[112:113]
	v_fma_f64 v[110:111], v[118:119], s[8:9], v[162:163]
	v_fma_f64 v[174:175], v[56:57], s[16:17], v[150:151]
	v_fma_f64 v[32:33], v[94:95], s[16:17], v[180:181]
	v_fma_f64 v[170:171], v[76:77], s[16:17], v[96:97]
	v_fma_f64 v[36:37], v[56:57], s[16:17], v[0:1]
	v_fma_f64 v[172:173], v[78:79], s[16:17], v[14:15]
	v_fma_f64 v[184:185], v[76:77], s[16:17], v[4:5]
	s_waitcnt vmcnt(9)
	v_fma_f64 v[14:15], v[210:211], -0.5, v[142:143]
	v_add_f64 v[182:183], v[44:45], -v[146:147]
	v_add_f64 v[186:187], v[48:49], -v[84:85]
	;; [unrolled: 1-line block ×8, first 2 shown]
	v_add_f64 v[96:97], v[154:155], v[178:179]
	v_fma_f64 v[76:77], v[192:193], -0.5, v[138:139]
	v_fma_f64 v[162:163], v[212:213], -0.5, v[142:143]
	;; [unrolled: 1-line block ×3, first 2 shown]
	v_add_f64 v[100:101], v[52:53], -v[40:41]
	s_waitcnt vmcnt(2)
	v_add_f64 v[222:223], v[106:107], v[90:91]
	v_add_f64 v[154:155], v[190:191], v[188:189]
	v_mul_f64 v[0:1], v[174:175], s[18:19]
	v_mul_f64 v[4:5], v[32:33], s[14:15]
	v_fma_f64 v[8:9], v[8:9], -0.5, v[144:145]
	v_fma_f64 v[70:71], v[124:125], s[6:7], v[70:71]
	v_fma_f64 v[98:99], v[118:119], s[6:7], v[98:99]
	v_add_f64 v[88:89], v[28:29], v[88:89]
	v_add_f64 v[24:25], v[24:25], v[58:59]
	v_fma_f64 v[190:191], v[78:79], s[16:17], v[10:11]
	v_fma_f64 v[192:193], v[94:95], s[16:17], v[2:3]
	;; [unrolled: 1-line block ×3, first 2 shown]
	v_mul_f64 v[10:11], v[170:171], s[16:17]
	v_mul_f64 v[12:13], v[36:37], s[18:19]
	v_fma_f64 v[58:59], v[176:177], s[16:17], v[110:111]
	v_fma_f64 v[110:111], v[214:215], s[14:15], v[14:15]
	s_waitcnt vmcnt(0)
	v_add_f64 v[56:57], v[72:73], v[130:131]
	v_add_f64 v[112:113], v[182:183], v[186:187]
	v_fma_f64 v[182:183], v[202:203], s[14:15], v[224:225]
	v_add_f64 v[94:95], v[196:197], v[194:195]
	v_fma_f64 v[124:125], v[208:209], s[4:5], v[76:77]
	v_fma_f64 v[188:189], v[214:215], s[4:5], v[14:15]
	;; [unrolled: 1-line block ×7, first 2 shown]
	v_add_f64 v[198:199], v[64:65], -v[54:55]
	v_add_f64 v[200:201], v[68:69], -v[42:43]
	v_fma_f64 v[178:179], v[220:221], s[14:15], v[178:179]
	v_add_f64 v[150:151], v[54:55], -v[64:65]
	v_add_f64 v[180:181], v[42:43], -v[68:69]
	v_fma_f64 v[118:119], v[202:203], s[4:5], v[224:225]
	v_fma_f64 v[186:187], v[208:209], s[14:15], v[76:77]
	;; [unrolled: 1-line block ×6, first 2 shown]
	v_add_f64 v[8:9], v[24:25], v[88:89]
	v_add_f64 v[14:15], v[88:89], -v[24:25]
	v_fma_f64 v[98:99], v[192:193], s[14:15], -v[10:11]
	v_fma_f64 v[218:219], v[190:191], s[8:9], -v[12:13]
	v_fma_f64 v[12:13], v[222:223], -0.5, v[126:127]
	v_add_f64 v[24:25], v[108:109], v[92:93]
	v_fma_f64 v[182:183], v[208:209], s[8:9], v[182:183]
	v_fma_f64 v[176:177], v[214:215], s[8:9], v[194:195]
	v_add_f64 v[10:11], v[2:3], v[0:1]
	v_add_f64 v[76:77], v[2:3], -v[0:1]
	v_add_f64 v[78:79], v[58:59], -v[4:5]
	v_add_f64 v[88:89], v[4:5], v[58:59]
	v_fma_f64 v[0:1], v[216:217], s[8:9], v[110:111]
	v_add_f64 v[58:59], v[132:133], -v[74:75]
	v_fma_f64 v[110:111], v[202:203], s[8:9], v[124:125]
	v_fma_f64 v[124:125], v[216:217], s[6:7], v[188:189]
	;; [unrolled: 1-line block ×4, first 2 shown]
	v_add_f64 v[194:195], v[74:75], v[132:133]
	v_fma_f64 v[56:57], v[56:57], -0.5, v[126:127]
	v_add_f64 v[196:197], v[108:109], -v[92:93]
	v_add_f64 v[2:3], v[200:201], v[198:199]
	v_fma_f64 v[100:101], v[100:101], s[8:9], v[178:179]
	v_fma_f64 v[4:5], v[208:209], s[6:7], v[118:119]
	;; [unrolled: 1-line block ×3, first 2 shown]
	v_add_f64 v[150:151], v[180:181], v[150:151]
	v_add_f64 v[138:139], v[146:147], v[138:139]
	v_fma_f64 v[180:181], v[220:221], s[6:7], v[210:211]
	v_fma_f64 v[198:199], v[220:221], s[8:9], v[212:213]
	v_add_f64 v[200:201], v[102:103], v[114:115]
	v_add_f64 v[202:203], v[130:131], -v[106:107]
	v_add_f64 v[210:211], v[72:73], -v[90:91]
	;; [unrolled: 1-line block ×4, first 2 shown]
	v_fma_f64 v[186:187], v[154:155], s[16:17], v[0:1]
	v_add_f64 v[0:1], v[134:135], v[80:81]
	v_fma_f64 v[212:213], v[58:59], s[14:15], v[12:13]
	v_fma_f64 v[220:221], v[24:25], -0.5, v[128:129]
	v_add_f64 v[222:223], v[130:131], -v[72:73]
	v_fma_f64 v[208:209], v[96:97], s[16:17], v[182:183]
	v_fma_f64 v[24:25], v[154:155], s[16:17], v[124:125]
	;; [unrolled: 1-line block ×4, first 2 shown]
	v_fma_f64 v[94:95], v[194:195], -0.5, v[128:129]
	v_add_f64 v[124:125], v[106:107], -v[90:91]
	v_fma_f64 v[154:155], v[196:197], s[4:5], v[56:57]
	v_fma_f64 v[56:57], v[196:197], s[14:15], v[56:57]
	;; [unrolled: 1-line block ×5, first 2 shown]
	v_add_f64 v[100:101], v[142:143], v[62:63]
	v_add_f64 v[2:3], v[44:45], v[138:139]
	v_fma_f64 v[138:139], v[200:201], -0.5, v[120:121]
	v_add_f64 v[142:143], v[136:137], -v[82:83]
	v_add_f64 v[200:201], v[210:211], v[202:203]
	v_add_f64 v[202:203], v[132:133], -v[108:109]
	v_add_f64 v[210:211], v[74:75], -v[92:93]
	v_fma_f64 v[0:1], v[0:1], -0.5, v[120:121]
	v_fma_f64 v[194:195], v[196:197], s[8:9], v[212:213]
	v_add_f64 v[212:213], v[216:217], v[214:215]
	v_fma_f64 v[214:215], v[222:223], s[4:5], v[220:221]
	v_add_f64 v[120:121], v[120:121], v[134:135]
	v_add_f64 v[126:127], v[130:131], v[126:127]
	v_add_f64 v[162:163], v[116:117], -v[104:105]
	v_add_f64 v[130:131], v[108:109], -v[132:133]
	;; [unrolled: 1-line block ×3, first 2 shown]
	v_fma_f64 v[224:225], v[124:125], s[14:15], v[94:95]
	v_fma_f64 v[154:155], v[58:59], s[8:9], v[154:155]
	;; [unrolled: 1-line block ×6, first 2 shown]
	v_add_f64 v[100:101], v[52:53], v[100:101]
	v_fma_f64 v[62:63], v[150:151], s[16:17], v[180:181]
	v_fma_f64 v[198:199], v[150:151], s[16:17], v[198:199]
	v_add_f64 v[150:151], v[134:135], -v[114:115]
	v_add_f64 v[180:181], v[80:81], -v[102:103]
	v_fma_f64 v[220:221], v[142:143], s[14:15], v[138:139]
	v_add_f64 v[210:211], v[210:211], v[202:203]
	v_add_f64 v[228:229], v[114:115], -v[134:135]
	v_fma_f64 v[196:197], v[200:201], s[16:17], v[194:195]
	v_add_f64 v[202:203], v[102:103], -v[80:81]
	v_fma_f64 v[214:215], v[124:125], s[6:7], v[214:215]
	v_add_f64 v[120:121], v[120:121], v[114:115]
	v_add_f64 v[126:127], v[106:107], v[126:127]
	v_fma_f64 v[226:227], v[162:163], s[4:5], v[0:1]
	v_fma_f64 v[138:139], v[142:143], s[4:5], v[138:139]
	v_add_f64 v[130:131], v[216:217], v[130:131]
	v_fma_f64 v[216:217], v[222:223], s[6:7], v[224:225]
	v_fma_f64 v[194:195], v[212:213], s[16:17], v[154:155]
	;; [unrolled: 1-line block ×7, first 2 shown]
	v_add_f64 v[2:3], v[48:49], v[2:3]
	v_add_f64 v[12:13], v[40:41], v[100:101]
	v_mul_f64 v[100:101], v[182:183], s[16:17]
	v_mul_f64 v[124:125], v[176:177], s[16:17]
	;; [unrolled: 1-line block ×4, first 2 shown]
	v_add_f64 v[150:151], v[180:181], v[150:151]
	v_fma_f64 v[212:213], v[162:163], s[8:9], v[220:221]
	v_add_f64 v[220:221], v[202:203], v[228:229]
	v_fma_f64 v[40:41], v[210:211], s[16:17], v[214:215]
	v_add_f64 v[120:121], v[102:103], v[120:121]
	v_add_f64 v[126:127], v[90:91], v[126:127]
	v_mul_f64 v[214:215], v[196:197], s[18:19]
	v_fma_f64 v[222:223], v[142:143], s[8:9], v[226:227]
	v_fma_f64 v[138:139], v[162:163], s[6:7], v[138:139]
	;; [unrolled: 1-line block ×3, first 2 shown]
	v_mul_f64 v[216:217], v[194:195], s[16:17]
	v_fma_f64 v[0:1], v[142:143], s[6:7], v[0:1]
	v_fma_f64 v[202:203], v[130:131], s[16:17], v[94:95]
	v_mul_f64 v[94:95], v[52:53], s[16:17]
	v_fma_f64 v[200:201], v[210:211], s[16:17], v[56:57]
	v_mul_f64 v[56:57], v[106:107], s[18:19]
	v_add_f64 v[2:3], v[84:85], v[2:3]
	v_add_f64 v[66:67], v[66:67], v[12:13]
	v_fma_f64 v[110:111], v[112:113], s[16:17], v[110:111]
	v_fma_f64 v[130:131], v[62:63], s[14:15], v[100:101]
	;; [unrolled: 1-line block ×3, first 2 shown]
	v_fma_f64 v[124:125], v[198:199], s[14:15], -v[124:125]
	v_fma_f64 v[4:5], v[96:97], s[16:17], v[4:5]
	v_fma_f64 v[154:155], v[188:189], s[8:9], -v[154:155]
	v_fma_f64 v[58:59], v[186:187], s[18:19], v[58:59]
	v_fma_f64 v[210:211], v[150:151], s[16:17], v[212:213]
	v_add_f64 v[224:225], v[80:81], v[120:121]
	v_add_f64 v[226:227], v[72:73], v[126:127]
	v_fma_f64 v[213:214], v[40:41], s[8:9], v[214:215]
	v_add_f64 v[12:13], v[164:165], v[218:219]
	v_fma_f64 v[222:223], v[220:221], s[16:17], v[222:223]
	v_add_f64 v[72:73], v[164:165], -v[218:219]
	v_fma_f64 v[215:216], v[180:181], s[14:15], v[216:217]
	v_fma_f64 v[0:1], v[220:221], s[16:17], v[0:1]
	;; [unrolled: 1-line block ×3, first 2 shown]
	v_fma_f64 v[217:218], v[202:203], s[14:15], -v[94:95]
	v_add_f64 v[90:91], v[98:99], v[70:71]
	v_fma_f64 v[150:151], v[200:201], s[8:9], -v[56:57]
	v_add_f64 v[70:71], v[70:71], -v[98:99]
	v_add_f64 v[94:95], v[66:67], v[2:3]
	v_add_f64 v[120:121], v[2:3], -v[66:67]
	v_mul_u32_u24_e32 v2, 0x1e0, v7
	v_add_f64 v[100:101], v[110:111], -v[130:131]
	v_add_f64 v[110:111], v[110:111], v[130:131]
	v_add_f64 v[112:113], v[142:143], v[124:125]
	;; [unrolled: 1-line block ×3, first 2 shown]
	v_lshlrev_b32_e32 v212, 3, v2
	v_mul_u32_u24_e32 v2, 10, v204
	v_add_f64 v[98:99], v[208:209], -v[58:59]
	v_add_f64 v[96:97], v[208:209], v[58:59]
	v_add_f64 v[124:125], v[142:143], -v[124:125]
	v_add_nc_u32_e32 v130, 0, v212
	v_add_f64 v[126:127], v[4:5], -v[154:155]
	v_add_f64 v[162:163], v[224:225], v[226:227]
	v_add_f64 v[164:165], v[210:211], v[213:214]
	v_add_f64 v[56:57], v[210:211], -v[213:214]
	v_add_f64 v[58:59], v[222:223], -v[215:216]
	v_add_f64 v[208:209], v[222:223], v[215:216]
	v_add_f64 v[210:211], v[0:1], v[217:218]
	v_add_f64 v[6:7], v[224:225], -v[226:227]
	v_add_f64 v[4:5], v[138:139], v[150:151]
	v_add_f64 v[0:1], v[0:1], -v[217:218]
	v_lshl_add_u32 v66, v2, 3, v130
	v_add_f64 v[2:3], v[138:139], -v[150:151]
	v_mul_i32_i24_e32 v67, 10, v205
	ds_write_b128 v66, v[8:11]
	ds_write_b128 v66, v[88:91] offset:16
	v_mul_i32_i24_e32 v8, 10, v206
	v_lshl_add_u32 v67, v67, 3, v130
	ds_write_b128 v66, v[12:15] offset:32
	ds_write_b128 v66, v[76:79] offset:48
	;; [unrolled: 1-line block ×3, first 2 shown]
	ds_write_b128 v67, v[94:97]
	v_cmp_gt_u32_e64 s0, 12, v204
	v_lshl_add_u32 v214, v8, 3, v130
	v_lshlrev_b32_e32 v8, 3, v204
	ds_write_b128 v67, v[110:113] offset:16
	ds_write_b128 v67, v[118:121] offset:32
	;; [unrolled: 1-line block ×4, first 2 shown]
	ds_write_b128 v214, v[162:165]
	ds_write_b128 v214, v[208:211] offset:16
	v_lshl_add_u32 v211, v206, 3, v130
	v_lshl_add_u32 v210, v205, 3, v130
	s_load_dwordx2 s[2:3], s[2:3], 0x0
	v_add3_u32 v209, 0, v8, v212
	v_add_nc_u32_e32 v208, v130, v8
	v_lshlrev_b32_e32 v213, 3, v207
	ds_write_b128 v214, v[4:7] offset:32
	ds_write_b128 v214, v[56:59] offset:48
	;; [unrolled: 1-line block ×3, first 2 shown]
	s_waitcnt lgkmcnt(0)
	s_barrier
	buffer_gl0_inv
	v_add_nc_u32_e32 v215, 0x800, v209
	ds_read_b64 v[142:143], v208
	ds_read_b64 v[130:131], v211
	ds_read_b64 v[138:139], v210
	ds_read_b64 v[150:151], v209 offset:3616
	ds_read2_b64 v[162:165], v209 offset0:60 offset1:76
	ds_read2_b64 v[98:101], v209 offset0:92 offset1:120
	;; [unrolled: 1-line block ×8, first 2 shown]
	ds_read2_b64 v[12:15], v215 offset1:16
	ds_read2_b64 v[76:79], v215 offset0:120 offset1:136
                                        ; implicit-def: $vgpr154_vgpr155
                                        ; implicit-def: $vgpr72_vgpr73
	s_and_saveexec_b32 s1, s0
	s_cbranch_execz .LBB0_15
; %bb.14:
	v_add_nc_u32_e32 v0, 0x400, v209
	ds_read2_b64 v[216:219], v209 offset0:108 offset1:168
	ds_read2_b64 v[70:73], v215 offset0:92 offset1:152
	;; [unrolled: 1-line block ×3, first 2 shown]
	v_add3_u32 v0, 0, v213, v212
	ds_read_b64 v[4:5], v0
	ds_read_b64 v[154:155], v209 offset:3744
	s_waitcnt lgkmcnt(4)
	v_mov_b32_e32 v6, v216
	s_waitcnt lgkmcnt(3)
	v_mov_b32_e32 v2, v70
	;; [unrolled: 2-line block ×3, first 2 shown]
	v_mov_b32_e32 v0, v222
	v_mov_b32_e32 v56, v218
	;; [unrolled: 1-line block ×7, first 2 shown]
.LBB0_15:
	s_or_b32 exec_lo, exec_lo, s1
	v_add_f64 v[70:71], v[22:23], v[18:19]
	v_add_f64 v[216:217], v[30:31], v[160:161]
	;; [unrolled: 1-line block ×5, first 2 shown]
	v_add_f64 v[84:85], v[146:147], -v[84:85]
	v_add_f64 v[146:147], v[148:149], v[86:87]
	v_add_f64 v[64:65], v[144:145], v[64:65]
	;; [unrolled: 1-line block ×4, first 2 shown]
	v_add_f64 v[28:29], v[158:159], -v[28:29]
	v_add_f64 v[16:17], v[20:21], -v[16:17]
	;; [unrolled: 1-line block ×4, first 2 shown]
	v_mul_f64 v[156:157], v[174:175], s[6:7]
	v_mul_f64 v[174:175], v[184:185], s[4:5]
	;; [unrolled: 1-line block ×3, first 2 shown]
	v_add_f64 v[192:193], v[148:149], v[140:141]
	v_add_f64 v[44:45], v[44:45], -v[48:49]
	v_add_f64 v[228:229], v[122:123], v[136:137]
	v_add_f64 v[80:81], v[134:135], -v[80:81]
	v_add_f64 v[128:129], v[132:133], v[128:129]
	v_fma_f64 v[70:71], v[70:71], -0.5, v[152:153]
	v_fma_f64 v[152:153], v[216:217], -0.5, v[152:153]
	v_add_f64 v[22:23], v[22:23], v[218:219]
	v_add_f64 v[34:35], v[60:61], v[34:35]
	v_fma_f64 v[60:61], v[222:223], -0.5, v[140:141]
	v_add_f64 v[102:103], v[114:115], -v[102:103]
	v_fma_f64 v[140:141], v[146:147], -0.5, v[140:141]
	v_add_f64 v[158:159], v[30:31], -v[18:19]
	v_fma_f64 v[144:145], v[144:145], -0.5, v[122:123]
	v_fma_f64 v[122:123], v[226:227], -0.5, v[122:123]
	v_add_f64 v[220:221], v[18:19], -v[30:31]
	v_add_f64 v[54:55], v[54:55], v[64:65]
	v_add_f64 v[48:49], v[148:149], -v[46:47]
	v_add_f64 v[224:225], v[86:87], -v[50:51]
	;; [unrolled: 1-line block ×5, first 2 shown]
	v_add_f64 v[46:47], v[46:47], v[192:193]
	v_add_f64 v[134:135], v[82:83], -v[104:105]
	v_add_f64 v[136:137], v[116:117], -v[136:137]
	v_fma_f64 v[156:157], v[172:173], s[18:19], v[156:157]
	v_add_f64 v[116:117], v[228:229], v[116:117]
	v_fma_f64 v[218:219], v[28:29], s[4:5], v[70:71]
	v_fma_f64 v[222:223], v[16:17], s[14:15], v[152:153]
	;; [unrolled: 1-line block ×4, first 2 shown]
	v_add_f64 v[18:19], v[18:19], v[22:23]
	v_add_f64 v[22:23], v[38:39], v[34:35]
	v_fma_f64 v[34:35], v[84:85], s[4:5], v[60:61]
	v_fma_f64 v[38:39], v[84:85], s[14:15], v[60:61]
	;; [unrolled: 1-line block ×5, first 2 shown]
	v_add_f64 v[108:109], v[108:109], v[128:129]
	v_add_f64 v[146:147], v[104:105], -v[82:83]
	v_fma_f64 v[32:33], v[32:33], s[16:17], v[174:175]
	v_fma_f64 v[174:175], v[102:103], s[14:15], v[122:123]
	;; [unrolled: 1-line block ×4, first 2 shown]
	v_add_f64 v[20:21], v[158:159], v[20:21]
	v_mul_f64 v[182:183], v[182:183], s[4:5]
	v_add_f64 v[158:159], v[220:221], v[160:161]
	v_mul_f64 v[190:191], v[190:191], s[18:19]
	v_mul_f64 v[186:187], v[186:187], s[6:7]
	v_fma_f64 v[152:153], v[16:17], s[6:7], v[218:219]
	v_fma_f64 v[160:161], v[28:29], s[6:7], v[222:223]
	;; [unrolled: 1-line block ×4, first 2 shown]
	v_add_f64 v[48:49], v[48:49], v[224:225]
	v_add_f64 v[46:47], v[50:51], v[46:47]
	;; [unrolled: 1-line block ×4, first 2 shown]
	v_fma_f64 v[30:31], v[44:45], s[6:7], v[34:35]
	v_mul_f64 v[198:199], v[198:199], s[16:17]
	v_add_f64 v[128:129], v[148:149], v[216:217]
	v_fma_f64 v[34:35], v[44:45], s[8:9], v[38:39]
	v_fma_f64 v[38:39], v[84:85], s[6:7], v[60:61]
	;; [unrolled: 1-line block ×3, first 2 shown]
	v_mul_f64 v[188:189], v[188:189], s[18:19]
	v_mul_f64 v[132:133], v[196:197], s[6:7]
	v_add_f64 v[60:61], v[134:135], v[114:115]
	v_add_f64 v[70:71], v[104:105], v[116:117]
	v_fma_f64 v[84:85], v[102:103], s[6:7], v[172:173]
	v_add_f64 v[92:93], v[92:93], v[108:109]
	v_mul_f64 v[194:195], v[194:195], s[4:5]
	v_mul_f64 v[196:197], v[202:203], s[16:17]
	v_add_f64 v[64:65], v[146:147], v[136:137]
	v_fma_f64 v[104:105], v[80:81], s[6:7], v[174:175]
	v_fma_f64 v[80:81], v[80:81], s[8:9], v[122:123]
	v_mul_f64 v[200:201], v[200:201], s[18:19]
	v_fma_f64 v[102:103], v[102:103], s[8:9], v[144:145]
	v_add_f64 v[22:23], v[26:27], v[22:23]
	v_fma_f64 v[50:51], v[20:21], s[16:17], v[152:153]
	v_fma_f64 v[170:171], v[170:171], s[4:5], -v[184:185]
	v_fma_f64 v[54:55], v[158:159], s[16:17], v[160:161]
	v_fma_f64 v[116:117], v[62:63], s[16:17], v[182:183]
	;; [unrolled: 1-line block ×3, first 2 shown]
	v_fma_f64 v[108:109], v[36:37], s[6:7], -v[190:191]
	v_fma_f64 v[16:17], v[20:21], s[16:17], v[16:17]
	v_fma_f64 v[114:115], v[178:179], s[18:19], v[186:187]
	v_add_f64 v[86:87], v[86:87], v[46:47]
	v_add_f64 v[20:21], v[68:69], v[42:43]
	v_fma_f64 v[30:31], v[48:49], s[16:17], v[30:31]
	v_fma_f64 v[122:123], v[128:129], s[16:17], v[38:39]
	;; [unrolled: 1-line block ×3, first 2 shown]
	v_fma_f64 v[134:135], v[176:177], s[4:5], -v[198:199]
	v_fma_f64 v[34:35], v[48:49], s[16:17], v[34:35]
	v_fma_f64 v[24:25], v[24:25], s[6:7], -v[188:189]
	v_add_f64 v[136:137], v[82:83], v[70:71]
	v_fma_f64 v[140:141], v[60:61], s[16:17], v[84:85]
	v_add_f64 v[74:75], v[74:75], v[92:93]
	v_fma_f64 v[92:93], v[40:41], s[18:19], v[132:133]
	v_fma_f64 v[146:147], v[64:65], s[16:17], v[104:105]
	;; [unrolled: 1-line block ×4, first 2 shown]
	v_fma_f64 v[148:149], v[52:53], s[4:5], -v[196:197]
	v_fma_f64 v[144:145], v[60:61], s[16:17], v[102:103]
	v_fma_f64 v[152:153], v[106:107], s[6:7], -v[200:201]
	v_add_f64 v[26:27], v[22:23], v[18:19]
	v_add_f64 v[28:29], v[50:51], v[156:157]
	v_add_f64 v[36:37], v[54:55], v[32:33]
	v_add_f64 v[38:39], v[62:63], v[170:171]
	v_add_f64 v[40:41], v[16:17], v[108:109]
	v_add_f64 v[42:43], v[18:19], -v[22:23]
	v_add_f64 v[44:45], v[50:51], -v[156:157]
	v_add_f64 v[46:47], v[54:55], -v[32:33]
	v_add_f64 v[48:49], v[62:63], -v[170:171]
	v_add_f64 v[50:51], v[16:17], -v[108:109]
	v_add_f64 v[52:53], v[20:21], v[86:87]
	v_add_f64 v[54:55], v[30:31], v[114:115]
	v_add_f64 v[60:61], v[122:123], v[116:117]
	v_add_f64 v[62:63], v[128:129], v[134:135]
	v_add_f64 v[68:69], v[34:35], v[24:25]
	v_add_f64 v[70:71], v[86:87], -v[20:21]
	v_add_f64 v[80:81], v[30:31], -v[114:115]
	v_add_f64 v[82:83], v[122:123], -v[116:117]
	v_add_f64 v[84:85], v[128:129], -v[134:135]
	v_add_f64 v[86:87], v[34:35], -v[24:25]
	;; [unrolled: 10-line block ×3, first 2 shown]
	s_waitcnt lgkmcnt(0)
	s_barrier
	buffer_gl0_inv
	ds_write_b128 v66, v[26:29]
	ds_write_b128 v66, v[36:39] offset:16
	ds_write_b128 v66, v[40:43] offset:32
	ds_write_b128 v66, v[44:47] offset:48
	ds_write_b128 v66, v[48:51] offset:64
	ds_write_b128 v67, v[52:55]
	ds_write_b128 v67, v[60:63] offset:16
	ds_write_b128 v67, v[68:71] offset:32
	ds_write_b128 v67, v[80:83] offset:48
	ds_write_b128 v67, v[84:87] offset:64
	;; [unrolled: 5-line block ×3, first 2 shown]
	s_waitcnt lgkmcnt(0)
	s_barrier
	buffer_gl0_inv
	ds_read_b64 v[74:75], v208
	ds_read2_b64 v[102:105], v209 offset0:60 offset1:76
	ds_read2_b64 v[52:55], v209 offset0:92 offset1:120
	;; [unrolled: 1-line block ×8, first 2 shown]
	ds_read2_b64 v[28:31], v215 offset1:16
	ds_read2_b64 v[40:43], v215 offset0:120 offset1:136
	ds_read_b64 v[92:93], v211
	ds_read_b64 v[114:115], v210
	ds_read_b64 v[116:117], v209 offset:3616
                                        ; implicit-def: $vgpr38_vgpr39
                                        ; implicit-def: $vgpr122_vgpr123
	s_and_saveexec_b32 s1, s0
	s_cbranch_execz .LBB0_17
; %bb.16:
	v_add_nc_u32_e32 v16, 0x400, v209
	v_add_nc_u32_e32 v17, 0x800, v209
	ds_read2_b64 v[80:83], v209 offset0:108 offset1:168
	ds_read2_b64 v[20:23], v16 offset0:100 offset1:160
	v_add3_u32 v16, 0, v213, v212
	ds_read2_b64 v[36:39], v17 offset0:92 offset1:152
	ds_read_b64 v[16:17], v16
	ds_read_b64 v[122:123], v209 offset:3744
	s_waitcnt lgkmcnt(4)
	v_mov_b32_e32 v18, v80
	s_waitcnt lgkmcnt(3)
	v_mov_b32_e32 v35, v21
	v_mov_b32_e32 v34, v20
	v_mov_b32_e32 v20, v22
	v_mov_b32_e32 v21, v23
	s_waitcnt lgkmcnt(2)
	v_mov_b32_e32 v22, v36
	v_mov_b32_e32 v32, v82
	;; [unrolled: 1-line block ×5, first 2 shown]
.LBB0_17:
	s_or_b32 exec_lo, exec_lo, s1
	v_add_nc_u32_e32 v36, -10, v204
	v_cmp_gt_u32_e64 s1, 10, v204
	v_mov_b32_e32 v37, 0
	s_mov_b32 s4, 0x667f3bcd
	s_mov_b32 s5, 0x3fe6a09e
	;; [unrolled: 1-line block ×3, first 2 shown]
	v_cndmask_b32_e64 v140, v36, v204, s1
	s_mov_b32 s6, s4
	v_mul_i32_i24_e32 v36, 7, v140
	v_lshlrev_b64 v[36:37], 4, v[36:37]
	v_add_co_u32 v128, s1, s12, v36
	v_add_co_ci_u32_e64 v129, s1, s13, v37, s1
	v_cmp_lt_u32_e64 s1, 9, v204
	s_clause 0x1
	global_load_dwordx4 v[84:87], v[128:129], off
	global_load_dwordx4 v[80:83], v[128:129], off offset:16
	s_waitcnt vmcnt(1) lgkmcnt(12)
	v_mul_f64 v[36:37], v[102:103], v[86:87]
	v_fma_f64 v[134:135], v[162:163], v[84:85], -v[36:37]
	v_mul_f64 v[36:37], v[162:163], v[86:87]
	v_fma_f64 v[136:137], v[102:103], v[84:85], v[36:37]
	v_and_b32_e32 v36, 0xff, v205
	v_mul_lo_u16 v36, 0xcd, v36
	v_lshrrev_b16 v141, 11, v36
	v_mul_lo_u16 v36, v141, 10
	v_sub_nc_u16 v144, v205, v36
	v_mov_b32_e32 v36, 4
	v_mul_lo_u16 v37, v144, 7
	v_lshlrev_b32_sdwa v145, v36, v37 dst_sel:DWORD dst_unused:UNUSED_PAD src0_sel:DWORD src1_sel:BYTE_0
	s_clause 0x1
	global_load_dwordx4 v[106:109], v145, s[12:13]
	global_load_dwordx4 v[84:87], v[128:129], off offset:96
	s_waitcnt vmcnt(1)
	v_mul_f64 v[36:37], v[104:105], v[108:109]
	v_mul_f64 v[102:103], v[164:165], v[108:109]
	v_fma_f64 v[36:37], v[164:165], v[106:107], -v[36:37]
	v_fma_f64 v[132:133], v[104:105], v[106:107], v[102:103]
	s_clause 0x1
	global_load_dwordx4 v[102:105], v[128:129], off offset:32
	global_load_dwordx4 v[106:109], v[128:129], off offset:48
	s_waitcnt vmcnt(1) lgkmcnt(10)
	v_mul_f64 v[146:147], v[68:69], v[104:105]
	v_mul_f64 v[104:105], v[124:125], v[104:105]
	v_fma_f64 v[152:153], v[124:125], v[102:103], -v[146:147]
	v_fma_f64 v[156:157], v[68:69], v[102:103], v[104:105]
	s_clause 0x1
	global_load_dwordx4 v[102:105], v145, s[12:13] offset:32
	global_load_dwordx4 v[146:149], v145, s[12:13] offset:16
	s_waitcnt vmcnt(1)
	v_mul_f64 v[68:69], v[70:71], v[104:105]
	v_fma_f64 v[158:159], v[126:127], v[102:103], -v[68:69]
	v_mul_f64 v[68:69], v[126:127], v[104:105]
	v_fma_f64 v[160:161], v[70:71], v[102:103], v[68:69]
	s_clause 0x1
	global_load_dwordx4 v[68:71], v[128:129], off offset:64
	global_load_dwordx4 v[102:105], v[128:129], off offset:80
	s_waitcnt vmcnt(1) lgkmcnt(8)
	v_mul_f64 v[124:125], v[64:65], v[70:71]
	v_mul_f64 v[70:71], v[118:119], v[70:71]
	v_fma_f64 v[128:129], v[118:119], v[68:69], -v[124:125]
	v_fma_f64 v[118:119], v[64:65], v[68:69], v[70:71]
	s_clause 0x1
	global_load_dwordx4 v[124:127], v145, s[12:13] offset:64
	global_load_dwordx4 v[68:71], v145, s[12:13] offset:48
	s_waitcnt vmcnt(1)
	v_mul_f64 v[64:65], v[66:67], v[126:127]
	v_fma_f64 v[162:163], v[120:121], v[124:125], -v[64:65]
	v_mul_f64 v[64:65], v[120:121], v[126:127]
	v_fma_f64 v[120:121], v[66:67], v[124:125], v[64:65]
	s_waitcnt lgkmcnt(6)
	v_mul_f64 v[64:65], v[60:61], v[86:87]
	v_fma_f64 v[124:125], v[110:111], v[84:85], -v[64:65]
	v_mul_f64 v[64:65], v[110:111], v[86:87]
	v_fma_f64 v[110:111], v[60:61], v[84:85], v[64:65]
	s_clause 0x1
	global_load_dwordx4 v[64:67], v145, s[12:13] offset:96
	global_load_dwordx4 v[84:87], v145, s[12:13] offset:80
	s_waitcnt vmcnt(1)
	v_mul_f64 v[60:61], v[62:63], v[66:67]
	v_fma_f64 v[164:165], v[112:113], v[64:65], -v[60:61]
	v_mul_f64 v[60:61], v[112:113], v[66:67]
	v_fma_f64 v[112:113], v[62:63], v[64:65], v[60:61]
	v_mul_f64 v[60:61], v[54:55], v[82:83]
	v_fma_f64 v[170:171], v[100:101], v[80:81], -v[60:61]
	v_mul_f64 v[60:61], v[100:101], v[82:83]
	v_mov_b32_e32 v100, 7
	v_fma_f64 v[54:55], v[54:55], v[80:81], v[60:61]
	v_and_b32_e32 v60, 0xff, v206
	v_mul_lo_u16 v60, 0xcd, v60
	v_lshrrev_b16 v176, 11, v60
	v_mul_lo_u16 v60, v176, 10
	v_sub_nc_u16 v177, v206, v60
	v_mul_u32_u24_sdwa v60, v177, v100 dst_sel:DWORD dst_unused:UNUSED_PAD src0_sel:BYTE_0 src1_sel:DWORD
	v_lshlrev_b32_e32 v145, 4, v60
	s_clause 0x1
	global_load_dwordx4 v[60:63], v145, s[12:13]
	global_load_dwordx4 v[64:67], v145, s[12:13] offset:16
	s_waitcnt vmcnt(1)
	v_mul_f64 v[80:81], v[52:53], v[62:63]
	v_mul_f64 v[62:63], v[98:99], v[62:63]
	v_fma_f64 v[80:81], v[98:99], v[60:61], -v[80:81]
	v_fma_f64 v[82:83], v[52:53], v[60:61], v[62:63]
	s_waitcnt lgkmcnt(5)
	v_mul_f64 v[52:53], v[48:49], v[148:149]
	v_mul_f64 v[60:61], v[90:91], v[104:105]
	v_fma_f64 v[98:99], v[94:95], v[146:147], -v[52:53]
	v_mul_f64 v[52:53], v[94:95], v[148:149]
	v_fma_f64 v[52:53], v[48:49], v[146:147], v[52:53]
	s_waitcnt vmcnt(0)
	v_mul_f64 v[48:49], v[50:51], v[66:67]
	v_fma_f64 v[94:95], v[96:97], v[64:65], -v[48:49]
	v_mul_f64 v[48:49], v[96:97], v[66:67]
	v_fma_f64 v[48:49], v[50:51], v[64:65], v[48:49]
	v_mul_f64 v[50:51], v[46:47], v[104:105]
	v_fma_f64 v[46:47], v[46:47], v[102:103], v[60:61]
	s_clause 0x1
	global_load_dwordx4 v[60:63], v145, s[12:13] offset:64
	global_load_dwordx4 v[64:67], v145, s[12:13] offset:80
	v_fma_f64 v[50:51], v[90:91], v[102:103], -v[50:51]
	s_waitcnt vmcnt(1)
	v_mul_f64 v[90:91], v[44:45], v[62:63]
	v_mul_f64 v[62:63], v[88:89], v[62:63]
	v_fma_f64 v[90:91], v[88:89], v[60:61], -v[90:91]
	v_fma_f64 v[88:89], v[44:45], v[60:61], v[62:63]
	s_waitcnt lgkmcnt(3)
	v_mul_f64 v[44:45], v[40:41], v[86:87]
	v_fma_f64 v[96:97], v[76:77], v[84:85], -v[44:45]
	v_mul_f64 v[44:45], v[76:77], v[86:87]
	v_fma_f64 v[84:85], v[40:41], v[84:85], v[44:45]
	s_waitcnt vmcnt(0)
	v_mul_f64 v[40:41], v[42:43], v[66:67]
	v_fma_f64 v[86:87], v[78:79], v[64:65], -v[40:41]
	v_mul_f64 v[40:41], v[78:79], v[66:67]
	v_fma_f64 v[66:67], v[42:43], v[64:65], v[40:41]
	v_and_b32_e32 v40, 0xff, v207
	v_mul_lo_u16 v40, 0xcd, v40
	v_lshrrev_b16 v126, 11, v40
	v_mul_lo_u16 v40, v126, 10
	v_sub_nc_u16 v127, v207, v40
	v_mul_u32_u24_sdwa v40, v127, v100 dst_sel:DWORD dst_unused:UNUSED_PAD src0_sel:BYTE_0 src1_sel:DWORD
	v_lshlrev_b32_e32 v64, 4, v40
	s_clause 0x1
	global_load_dwordx4 v[42:45], v64, s[12:13] offset:16
	global_load_dwordx4 v[60:63], v64, s[12:13] offset:32
	s_waitcnt vmcnt(1)
	v_mul_f64 v[40:41], v[32:33], v[44:45]
	v_mul_f64 v[44:45], v[56:57], v[44:45]
	v_fma_f64 v[40:41], v[56:57], v[42:43], -v[40:41]
	v_fma_f64 v[76:77], v[32:33], v[42:43], v[44:45]
	s_waitcnt vmcnt(0)
	v_mul_f64 v[32:33], v[34:35], v[62:63]
	v_fma_f64 v[78:79], v[58:59], v[60:61], -v[32:33]
	v_mul_f64 v[32:33], v[58:59], v[62:63]
	v_fma_f64 v[60:61], v[34:35], v[60:61], v[32:33]
	s_clause 0x1
	global_load_dwordx4 v[32:35], v64, s[12:13] offset:80
	global_load_dwordx4 v[42:45], v64, s[12:13] offset:96
	s_waitcnt vmcnt(1)
	v_mul_f64 v[56:57], v[38:39], v[34:35]
	v_mul_f64 v[34:35], v[72:73], v[34:35]
	v_fma_f64 v[100:101], v[72:73], v[32:33], -v[56:57]
	v_fma_f64 v[102:103], v[38:39], v[32:33], v[34:35]
	s_clause 0x1
	global_load_dwordx4 v[32:35], v145, s[12:13] offset:96
	global_load_dwordx4 v[56:59], v64, s[12:13]
	s_waitcnt vmcnt(1) lgkmcnt(0)
	v_mul_f64 v[38:39], v[116:117], v[34:35]
	v_mul_f64 v[34:35], v[150:151], v[34:35]
	v_fma_f64 v[72:73], v[150:151], v[32:33], -v[38:39]
	v_fma_f64 v[104:105], v[116:117], v[32:33], v[34:35]
	v_mul_f64 v[32:33], v[122:123], v[44:45]
	v_fma_f64 v[116:117], v[154:155], v[42:43], -v[32:33]
	v_mul_f64 v[32:33], v[154:155], v[44:45]
	v_fma_f64 v[122:123], v[122:123], v[42:43], v[32:33]
	s_clause 0x1
	global_load_dwordx4 v[42:45], v145, s[12:13] offset:32
	global_load_dwordx4 v[32:35], v145, s[12:13] offset:48
	s_waitcnt vmcnt(1)
	v_mul_f64 v[38:39], v[24:25], v[44:45]
	v_fma_f64 v[145:146], v[8:9], v[42:43], -v[38:39]
	v_mul_f64 v[8:9], v[8:9], v[44:45]
	v_add_f64 v[38:39], v[134:135], -v[128:129]
	v_fma_f64 v[147:148], v[24:25], v[42:43], v[8:9]
	v_mul_f64 v[8:9], v[18:19], v[58:59]
	v_add_f64 v[24:25], v[136:137], -v[118:119]
	v_fma_f64 v[149:150], v[6:7], v[56:57], -v[8:9]
	v_mul_f64 v[6:7], v[6:7], v[58:59]
	v_fma_f64 v[154:155], v[18:19], v[56:57], v[6:7]
	s_clause 0x1
	global_load_dwordx4 v[6:9], v64, s[12:13] offset:64
	global_load_dwordx4 v[62:65], v64, s[12:13] offset:48
	s_waitcnt vmcnt(0)
	s_barrier
	buffer_gl0_inv
	v_mul_f64 v[18:19], v[22:23], v[8:9]
	v_fma_f64 v[172:173], v[2:3], v[6:7], -v[18:19]
	v_mul_f64 v[2:3], v[2:3], v[8:9]
	v_add_f64 v[8:9], v[156:157], -v[110:111]
	v_fma_f64 v[174:175], v[22:23], v[6:7], v[2:3]
	v_cndmask_b32_e64 v2, 0, 0x50, s1
	v_add_f64 v[6:7], v[170:171], -v[50:51]
	v_fma_f64 v[50:51], v[156:157], 2.0, -v[8:9]
	v_add_f64 v[22:23], v[54:55], -v[46:47]
	v_add_f64 v[110:111], v[38:39], -v[8:9]
	v_or_b32_e32 v56, v2, v140
	v_mul_f64 v[2:3], v[26:27], v[108:109]
	v_lshlrev_b32_e32 v46, 3, v56
	v_add3_u32 v128, 0, v46, v212
	v_add_f64 v[46:47], v[152:153], -v[124:125]
	v_fma_f64 v[44:45], v[170:171], 2.0, -v[6:7]
	v_fma_f64 v[2:3], v[10:11], v[106:107], -v[2:3]
	v_add_f64 v[118:119], v[24:25], v[46:47]
	v_fma_f64 v[46:47], v[152:153], 2.0, -v[46:47]
	v_add_f64 v[18:19], v[142:143], -v[2:3]
	v_fma_f64 v[2:3], v[136:137], 2.0, -v[24:25]
	v_fma_f64 v[136:137], v[24:25], 2.0, -v[118:119]
	v_fma_f64 v[42:43], v[142:143], 2.0, -v[18:19]
	v_add_f64 v[8:9], v[2:3], -v[50:51]
	v_add_f64 v[50:51], v[18:19], -v[22:23]
	;; [unrolled: 1-line block ×3, first 2 shown]
	v_fma_f64 v[56:57], v[110:111], s[4:5], v[50:51]
	v_add_f64 v[58:59], v[44:45], -v[8:9]
	v_fma_f64 v[42:43], v[42:43], 2.0, -v[44:45]
	v_fma_f64 v[56:57], v[118:119], s[6:7], v[56:57]
	ds_write2_b64 v128, v[58:59], v[56:57] offset0:60 offset1:70
	v_fma_f64 v[58:59], v[44:45], 2.0, -v[58:59]
	v_fma_f64 v[44:45], v[134:135], 2.0, -v[38:39]
	v_fma_f64 v[56:57], v[50:51], 2.0, -v[56:57]
	v_fma_f64 v[50:51], v[18:19], 2.0, -v[50:51]
	v_fma_f64 v[134:135], v[38:39], 2.0, -v[110:111]
	v_add_f64 v[18:19], v[44:45], -v[46:47]
	ds_write2_b64 v128, v[58:59], v[56:57] offset0:20 offset1:30
	v_add_f64 v[56:57], v[36:37], -v[162:163]
	v_fma_f64 v[38:39], v[134:135], s[6:7], v[50:51]
	v_add_f64 v[46:47], v[52:53], -v[84:85]
	v_add_f64 v[84:85], v[158:159], -v[164:165]
	v_fma_f64 v[44:45], v[44:45], 2.0, -v[18:19]
	v_fma_f64 v[36:37], v[36:37], 2.0, -v[56:57]
	v_fma_f64 v[38:39], v[136:137], s[6:7], v[38:39]
	v_add_f64 v[24:25], v[42:43], -v[44:45]
	v_add_f64 v[44:45], v[98:99], -v[96:97]
	v_fma_f64 v[42:43], v[42:43], 2.0, -v[24:25]
	ds_write2_b64 v128, v[24:25], v[38:39] offset0:40 offset1:50
	v_fma_f64 v[24:25], v[50:51], 2.0, -v[38:39]
	v_add_f64 v[50:51], v[132:133], -v[120:121]
	v_fma_f64 v[96:97], v[98:99], 2.0, -v[44:45]
	ds_write2_b64 v128, v[42:43], v[24:25] offset1:10
	v_mul_lo_u16 v24, 0x50, v141
	v_mov_b32_e32 v25, 3
	v_add_f64 v[42:43], v[160:161], -v[112:113]
	v_fma_f64 v[38:39], v[132:133], 2.0, -v[50:51]
	v_add_f64 v[120:121], v[50:51], v[84:85]
	v_or_b32_e32 v24, v24, v144
	v_fma_f64 v[84:85], v[158:159], 2.0, -v[84:85]
	v_lshlrev_b32_sdwa v124, v25, v24 dst_sel:DWORD dst_unused:UNUSED_PAD src0_sel:DWORD src1_sel:BYTE_0
	v_mul_f64 v[24:25], v[28:29], v[70:71]
	v_add3_u32 v129, 0, v124, v212
	v_fma_f64 v[98:99], v[160:161], 2.0, -v[42:43]
	v_add_f64 v[112:113], v[56:57], -v[42:43]
	v_fma_f64 v[24:25], v[12:13], v[68:69], -v[24:25]
	v_add_f64 v[42:43], v[38:39], -v[98:99]
	v_add_f64 v[24:25], v[138:139], -v[24:25]
	v_fma_f64 v[58:59], v[138:139], 2.0, -v[24:25]
	v_add_f64 v[98:99], v[24:25], -v[46:47]
	v_add_f64 v[96:97], v[58:59], -v[96:97]
	v_fma_f64 v[124:125], v[112:113], s[4:5], v[98:99]
	v_add_f64 v[132:133], v[96:97], -v[42:43]
	v_fma_f64 v[124:125], v[120:121], s[6:7], v[124:125]
	v_fma_f64 v[58:59], v[58:59], 2.0, -v[96:97]
	v_fma_f64 v[138:139], v[96:97], 2.0, -v[132:133]
	;; [unrolled: 1-line block ×4, first 2 shown]
	v_add_f64 v[24:25], v[36:37], -v[84:85]
	v_fma_f64 v[84:85], v[56:57], 2.0, -v[112:113]
	ds_write2_b64 v129, v[138:139], v[140:141] offset0:20 offset1:30
	ds_write2_b64 v129, v[132:133], v[124:125] offset0:60 offset1:70
	v_fma_f64 v[138:139], v[50:51], 2.0, -v[120:121]
	v_fma_f64 v[36:37], v[36:37], 2.0, -v[24:25]
	v_fma_f64 v[50:51], v[84:85], s[6:7], v[98:99]
	v_mov_b32_e32 v132, 0x50
	v_add_f64 v[36:37], v[58:59], -v[36:37]
	v_fma_f64 v[50:51], v[138:139], s[6:7], v[50:51]
	v_fma_f64 v[56:57], v[58:59], 2.0, -v[36:37]
	ds_write2_b64 v129, v[36:37], v[50:51] offset0:40 offset1:50
	v_fma_f64 v[36:37], v[98:99], 2.0, -v[50:51]
	v_add_f64 v[50:51], v[94:95], -v[86:87]
	v_add_f64 v[86:87], v[80:81], -v[90:91]
	v_mul_f64 v[98:99], v[112:113], s[4:5]
	ds_write2_b64 v129, v[56:57], v[36:37] offset1:10
	v_mul_u32_u24_sdwa v36, v176, v132 dst_sel:DWORD dst_unused:UNUSED_PAD src0_sel:WORD_0 src1_sel:DWORD
	v_fma_f64 v[90:91], v[94:95], 2.0, -v[50:51]
	v_fma_f64 v[80:81], v[80:81], 2.0, -v[86:87]
	v_add_f64 v[56:57], v[48:49], -v[66:67]
	v_add_f64 v[66:67], v[147:148], -v[104:105]
	v_or_b32_sdwa v96, v36, v177 dst_sel:DWORD dst_unused:UNUSED_PAD src0_sel:DWORD src1_sel:BYTE_0
	v_mul_f64 v[36:37], v[30:31], v[34:35]
	v_lshlrev_b32_e32 v96, 3, v96
	v_add_f64 v[140:141], v[86:87], -v[66:67]
	v_fma_f64 v[66:67], v[147:148], 2.0, -v[66:67]
	v_fma_f64 v[36:37], v[14:15], v[32:33], -v[36:37]
	v_fma_f64 v[142:143], v[86:87], 2.0, -v[140:141]
	v_add_f64 v[58:59], v[130:131], -v[36:37]
	v_add_f64 v[36:37], v[145:146], -v[72:73]
	;; [unrolled: 1-line block ×3, first 2 shown]
	v_fma_f64 v[88:89], v[130:131], 2.0, -v[58:59]
	v_fma_f64 v[94:95], v[145:146], 2.0, -v[36:37]
	v_add_f64 v[104:105], v[72:73], v[36:37]
	v_add3_u32 v130, 0, v96, v212
	v_mul_f64 v[96:97], v[110:111], s[4:5]
	v_add_f64 v[90:91], v[88:89], -v[90:91]
	v_add_f64 v[36:37], v[80:81], -v[94:95]
	;; [unrolled: 1-line block ×3, first 2 shown]
	v_fma_f64 v[144:145], v[72:73], 2.0, -v[104:105]
	v_mul_f64 v[110:111], v[104:105], s[4:5]
	v_fma_f64 v[88:89], v[88:89], 2.0, -v[90:91]
	v_fma_f64 v[80:81], v[80:81], 2.0, -v[36:37]
	;; [unrolled: 1-line block ×3, first 2 shown]
	v_mul_f64 v[112:113], v[144:145], s[4:5]
	v_add_f64 v[80:81], v[88:89], -v[80:81]
	v_fma_f64 v[86:87], v[142:143], s[6:7], v[58:59]
	v_fma_f64 v[88:89], v[88:89], 2.0, -v[80:81]
	v_fma_f64 v[86:87], v[144:145], s[6:7], v[86:87]
	v_fma_f64 v[58:59], v[58:59], 2.0, -v[86:87]
	ds_write2_b64 v130, v[88:89], v[58:59] offset1:10
	v_fma_f64 v[58:59], v[82:83], 2.0, -v[72:73]
	v_fma_f64 v[72:73], v[140:141], s[4:5], v[94:95]
	v_add_f64 v[66:67], v[58:59], -v[66:67]
	v_fma_f64 v[72:73], v[104:105], s[6:7], v[72:73]
	v_mul_f64 v[104:105], v[84:85], s[4:5]
	v_add_f64 v[82:83], v[90:91], -v[66:67]
	v_fma_f64 v[88:89], v[90:91], 2.0, -v[82:83]
	v_fma_f64 v[90:91], v[94:95], 2.0, -v[72:73]
	ds_write2_b64 v130, v[88:89], v[90:91] offset0:20 offset1:30
	ds_write2_b64 v130, v[80:81], v[86:87] offset0:40 offset1:50
	;; [unrolled: 1-line block ×3, first 2 shown]
	v_add_f64 v[72:73], v[78:79], -v[116:117]
	v_add_f64 v[80:81], v[60:61], -v[122:123]
	;; [unrolled: 1-line block ×4, first 2 shown]
	v_mul_f64 v[116:117], v[118:119], s[4:5]
	v_mul_f64 v[118:119], v[120:121], s[4:5]
	;; [unrolled: 1-line block ×4, first 2 shown]
	v_fma_f64 v[78:79], v[78:79], 2.0, -v[72:73]
	v_fma_f64 v[88:89], v[60:61], 2.0, -v[80:81]
	v_add_f64 v[80:81], v[82:83], -v[80:81]
	v_add_f64 v[94:95], v[86:87], v[72:73]
	v_fma_f64 v[124:125], v[149:150], 2.0, -v[82:83]
	v_fma_f64 v[72:73], v[154:155], 2.0, -v[86:87]
	v_mul_f64 v[60:61], v[140:141], s[4:5]
	v_fma_f64 v[146:147], v[82:83], 2.0, -v[80:81]
	v_fma_f64 v[148:149], v[86:87], 2.0, -v[94:95]
	v_add_f64 v[82:83], v[40:41], -v[100:101]
	v_add_f64 v[86:87], v[76:77], -v[102:103]
	;; [unrolled: 1-line block ×4, first 2 shown]
	v_mul_f64 v[80:81], v[80:81], s[4:5]
	v_mul_f64 v[102:103], v[134:135], s[4:5]
	;; [unrolled: 1-line block ×6, first 2 shown]
	s_and_saveexec_b32 s1, s0
	s_cbranch_execz .LBB0_19
; %bb.18:
	v_mul_f64 v[133:134], v[20:21], v[64:65]
	v_fma_f64 v[40:41], v[40:41], 2.0, -v[82:83]
	v_fma_f64 v[124:125], v[124:125], 2.0, -v[78:79]
	v_mul_u32_u24_sdwa v131, v126, v132 dst_sel:DWORD dst_unused:UNUSED_PAD src0_sel:WORD_0 src1_sel:DWORD
	v_or_b32_sdwa v131, v131, v127 dst_sel:DWORD dst_unused:UNUSED_PAD src0_sel:DWORD src1_sel:BYTE_0
	v_lshlrev_b32_e32 v131, 3, v131
	v_add3_u32 v131, 0, v131, v212
	v_fma_f64 v[133:134], v[0:1], v[62:63], -v[133:134]
	v_add_f64 v[133:134], v[4:5], -v[133:134]
	v_add_f64 v[135:136], v[133:134], -v[86:87]
	v_fma_f64 v[4:5], v[4:5], 2.0, -v[133:134]
	v_fma_f64 v[133:134], v[133:134], 2.0, -v[135:136]
	v_add_f64 v[40:41], v[4:5], -v[40:41]
	v_add_f64 v[137:138], v[135:136], v[80:81]
	v_add_f64 v[139:140], v[133:134], -v[84:85]
	v_fma_f64 v[4:5], v[4:5], 2.0, -v[40:41]
	v_add_f64 v[137:138], v[137:138], -v[94:95]
	v_add_f64 v[141:142], v[40:41], -v[90:91]
	;; [unrolled: 1-line block ×4, first 2 shown]
	v_fma_f64 v[135:136], v[135:136], 2.0, -v[137:138]
	v_fma_f64 v[40:41], v[40:41], 2.0, -v[141:142]
	;; [unrolled: 1-line block ×4, first 2 shown]
	ds_write2_b64 v131, v[40:41], v[135:136] offset0:20 offset1:30
	ds_write2_b64 v131, v[124:125], v[139:140] offset0:40 offset1:50
	ds_write2_b64 v131, v[4:5], v[133:134] offset1:10
	ds_write2_b64 v131, v[141:142], v[137:138] offset0:60 offset1:70
.LBB0_19:
	s_or_b32 exec_lo, exec_lo, s1
	v_mul_f64 v[4:5], v[10:11], v[108:109]
	v_mul_f64 v[10:11], v[12:13], v[70:71]
	;; [unrolled: 1-line block ×3, first 2 shown]
	v_fma_f64 v[14:15], v[54:55], 2.0, -v[22:23]
	v_fma_f64 v[22:23], v[52:53], 2.0, -v[46:47]
	;; [unrolled: 1-line block ×3, first 2 shown]
	s_waitcnt lgkmcnt(0)
	s_barrier
	buffer_gl0_inv
	v_fma_f64 v[4:5], v[26:27], v[106:107], v[4:5]
	v_fma_f64 v[10:11], v[28:29], v[68:69], v[10:11]
	;; [unrolled: 1-line block ×3, first 2 shown]
	v_fma_f64 v[28:29], v[48:49], 2.0, -v[56:57]
	v_add_f64 v[4:5], v[74:75], -v[4:5]
	v_add_f64 v[10:11], v[114:115], -v[10:11]
	;; [unrolled: 1-line block ×3, first 2 shown]
	v_fma_f64 v[26:27], v[74:75], 2.0, -v[4:5]
	v_add_f64 v[46:47], v[4:5], v[6:7]
	v_add_f64 v[52:53], v[10:11], v[44:45]
	v_fma_f64 v[30:31], v[92:93], 2.0, -v[12:13]
	v_fma_f64 v[6:7], v[114:115], 2.0, -v[10:11]
	v_add_f64 v[48:49], v[12:13], v[50:51]
	v_add_nc_u32_e32 v75, 0x800, v209
	v_add3_u32 v74, 0, v213, v212
	v_add_f64 v[14:15], v[26:27], -v[14:15]
	v_fma_f64 v[50:51], v[4:5], 2.0, -v[46:47]
	v_fma_f64 v[70:71], v[10:11], 2.0, -v[52:53]
	v_add_f64 v[92:93], v[30:31], -v[28:29]
	v_add_f64 v[68:69], v[6:7], -v[22:23]
	v_fma_f64 v[106:107], v[12:13], 2.0, -v[48:49]
	v_add_f64 v[12:13], v[46:47], v[116:117]
	v_fma_f64 v[22:23], v[38:39], 2.0, -v[42:43]
	v_add_f64 v[28:29], v[52:53], v[118:119]
	v_add_f64 v[38:39], v[48:49], v[110:111]
	v_fma_f64 v[10:11], v[2:3], 2.0, -v[8:9]
	v_fma_f64 v[108:109], v[26:27], 2.0, -v[14:15]
	v_add_f64 v[26:27], v[50:51], -v[120:121]
	v_add_f64 v[32:33], v[70:71], -v[122:123]
	v_fma_f64 v[66:67], v[30:31], 2.0, -v[92:93]
	v_fma_f64 v[114:115], v[6:7], 2.0, -v[68:69]
	v_add_f64 v[30:31], v[106:107], -v[112:113]
	v_add_f64 v[96:97], v[96:97], v[12:13]
	v_add_f64 v[112:113], v[68:69], v[24:25]
	;; [unrolled: 1-line block ×6, first 2 shown]
	ds_read2_b64 v[2:5], v209 offset0:64 offset1:80
	ds_read2_b64 v[6:9], v209 offset0:160 offset1:176
	;; [unrolled: 1-line block ×3, first 2 shown]
	v_add_f64 v[116:117], v[108:109], -v[10:11]
	v_add_f64 v[102:103], v[102:103], v[26:27]
	v_add_f64 v[104:105], v[104:105], v[32:33]
	v_add_f64 v[124:125], v[66:67], -v[34:35]
	v_add_f64 v[118:119], v[114:115], -v[22:23]
	v_add_f64 v[100:101], v[100:101], v[30:31]
	ds_read2_b64 v[10:13], v209 offset0:96 offset1:112
	ds_read2_b64 v[34:37], v209 offset0:192 offset1:208
	;; [unrolled: 1-line block ×5, first 2 shown]
	ds_read2_b64 v[22:25], v75 offset1:16
	ds_read2_b64 v[26:29], v75 offset0:160 offset1:176
	ds_read2_b64 v[42:45], v75 offset0:96 offset1:112
	v_fma_f64 v[131:132], v[46:47], 2.0, -v[96:97]
	v_fma_f64 v[133:134], v[68:69], 2.0, -v[112:113]
	;; [unrolled: 1-line block ×10, first 2 shown]
	ds_read_b64 v[70:71], v208
	ds_read_b64 v[18:19], v210
	;; [unrolled: 1-line block ×4, first 2 shown]
	ds_read2_b64 v[46:49], v75 offset0:32 offset1:48
	ds_read2_b64 v[50:53], v75 offset0:192 offset1:208
	v_fma_f64 v[114:115], v[114:115], 2.0, -v[118:119]
	v_fma_f64 v[106:107], v[106:107], 2.0, -v[100:101]
	s_waitcnt lgkmcnt(0)
	s_barrier
	buffer_gl0_inv
	ds_write2_b64 v128, v[110:111], v[96:97] offset0:60 offset1:70
	ds_write2_b64 v128, v[14:15], v[131:132] offset0:20 offset1:30
	;; [unrolled: 1-line block ×3, first 2 shown]
	ds_write2_b64 v128, v[108:109], v[137:138] offset1:10
	ds_write2_b64 v129, v[114:115], v[139:140] offset1:10
	ds_write2_b64 v129, v[133:134], v[135:136] offset0:20 offset1:30
	ds_write2_b64 v129, v[118:119], v[104:105] offset0:40 offset1:50
	;; [unrolled: 1-line block ×3, first 2 shown]
	ds_write2_b64 v130, v[143:144], v[106:107] offset1:10
	ds_write2_b64 v130, v[92:93], v[141:142] offset0:20 offset1:30
	ds_write2_b64 v130, v[124:125], v[100:101] offset0:40 offset1:50
	ds_write2_b64 v130, v[120:121], v[122:123] offset0:60 offset1:70
	s_and_saveexec_b32 s1, s0
	s_cbranch_execz .LBB0_21
; %bb.20:
	v_mul_f64 v[0:1], v[0:1], v[64:65]
	v_fma_f64 v[14:15], v[76:77], 2.0, -v[86:87]
	v_mov_b32_e32 v77, 0x50
	v_mul_u32_u24_sdwa v77, v126, v77 dst_sel:DWORD dst_unused:UNUSED_PAD src0_sel:WORD_0 src1_sel:DWORD
	v_or_b32_sdwa v77, v77, v127 dst_sel:DWORD dst_unused:UNUSED_PAD src0_sel:DWORD src1_sel:BYTE_0
	v_lshlrev_b32_e32 v77, 3, v77
	v_add3_u32 v77, 0, v77, v212
	v_fma_f64 v[0:1], v[20:21], v[62:63], v[0:1]
	v_fma_f64 v[62:63], v[72:73], 2.0, -v[90:91]
	v_add_f64 v[0:1], v[16:17], -v[0:1]
	v_fma_f64 v[16:17], v[16:17], 2.0, -v[0:1]
	v_add_f64 v[20:21], v[0:1], v[82:83]
	v_add_f64 v[14:15], v[16:17], -v[14:15]
	v_fma_f64 v[0:1], v[0:1], 2.0, -v[20:21]
	v_add_f64 v[64:65], v[20:21], v[94:95]
	v_fma_f64 v[16:17], v[16:17], 2.0, -v[14:15]
	v_add_f64 v[72:73], v[0:1], -v[88:89]
	v_add_f64 v[75:76], v[14:15], v[78:79]
	v_add_f64 v[64:65], v[80:81], v[64:65]
	v_add_f64 v[62:63], v[16:17], -v[62:63]
	v_add_f64 v[72:73], v[84:85], v[72:73]
	v_fma_f64 v[14:15], v[14:15], 2.0, -v[75:76]
	v_fma_f64 v[20:21], v[20:21], 2.0, -v[64:65]
	;; [unrolled: 1-line block ×4, first 2 shown]
	ds_write2_b64 v77, v[14:15], v[20:21] offset0:20 offset1:30
	ds_write2_b64 v77, v[62:63], v[72:73] offset0:40 offset1:50
	ds_write2_b64 v77, v[16:17], v[0:1] offset1:10
	ds_write2_b64 v77, v[75:76], v[64:65] offset0:60 offset1:70
.LBB0_21:
	s_or_b32 exec_lo, exec_lo, s1
	s_waitcnt lgkmcnt(0)
	s_barrier
	buffer_gl0_inv
	s_and_saveexec_b32 s0, vcc_lo
	s_cbranch_execz .LBB0_23
; %bb.22:
	v_or_b32_e32 v0, 64, v204
	v_mul_u32_u24_e32 v1, 5, v204
	v_mul_hi_u32 v213, 0xcccccccd, v204
	v_add_nc_u32_e32 v229, 16, v204
	v_mul_lo_u32 v202, s2, v169
	v_mul_u32_u24_e32 v0, 5, v0
	v_lshlrev_b32_e32 v1, 4, v1
	v_add_nc_u32_e32 v230, 32, v204
	v_mul_hi_u32 v225, 0xcccccccd, v229
	v_add_nc_u32_e32 v203, 0x800, v209
	v_lshlrev_b32_e32 v16, 4, v0
	v_mul_i32_i24_e32 v0, 5, v207
	v_lshrrev_b32_e32 v227, 6, v213
	v_mul_hi_u32 v226, 0xcccccccd, v230
	s_clause 0x8
	global_load_dwordx4 v[76:79], v1, s[12:13] offset:1152
	global_load_dwordx4 v[80:83], v16, s[12:13] offset:1136
	;; [unrolled: 1-line block ×9, first 2 shown]
	v_mov_b32_e32 v1, 0
	global_load_dwordx4 v[112:115], v16, s[12:13] offset:1120
	v_lshrrev_b32_e32 v231, 6, v225
	s_mov_b32 s0, 0xe8584caa
	s_mov_b32 s1, 0x3febb67a
	v_lshlrev_b64 v[14:15], 4, v[0:1]
	v_mul_i32_i24_e32 v0, 5, v206
	v_lshrrev_b32_e32 v232, 6, v226
	v_add_nc_u32_e32 v249, 48, v204
	v_lshlrev_b64 v[16:17], 4, v[0:1]
	v_add_co_u32 v14, vcc_lo, s12, v14
	v_add_co_ci_u32_e32 v15, vcc_lo, s13, v15, vcc_lo
	v_mul_i32_i24_e32 v0, 5, v205
	s_clause 0x1
	global_load_dwordx4 v[116:119], v[14:15], off offset:1136
	global_load_dwordx4 v[120:123], v[14:15], off offset:1168
	v_add_co_u32 v16, vcc_lo, s12, v16
	v_add_co_ci_u32_e32 v17, vcc_lo, s13, v17, vcc_lo
	s_clause 0x4
	global_load_dwordx4 v[124:127], v[14:15], off offset:1152
	global_load_dwordx4 v[128:131], v[14:15], off offset:1184
	;; [unrolled: 1-line block ×5, first 2 shown]
	v_lshlrev_b64 v[14:15], 4, v[0:1]
	s_clause 0x2
	global_load_dwordx4 v[144:147], v[16:17], off offset:1120
	global_load_dwordx4 v[148:151], v[16:17], off offset:1152
	;; [unrolled: 1-line block ×3, first 2 shown]
	v_mul_lo_u32 v0, s3, v168
	v_mad_u64_u32 v[168:169], null, s2, v168, 0
	s_mov_b32 s3, 0xbfebb67a
	v_add_co_u32 v14, vcc_lo, s12, v14
	v_add_co_ci_u32_e32 v15, vcc_lo, s13, v15, vcc_lo
	s_clause 0x4
	global_load_dwordx4 v[156:159], v[14:15], off offset:1136
	global_load_dwordx4 v[160:163], v[14:15], off offset:1168
	;; [unrolled: 1-line block ×5, first 2 shown]
	ds_read2_b64 v[182:185], v209 offset0:224 offset1:240
	v_add3_u32 v169, v169, v202, v0
	v_mul_lo_u32 v0, 0x50, v227
	v_mul_lo_u32 v202, 0x50, v231
	ds_read2_b64 v[14:17], v209 offset0:64 offset1:80
	ds_read2_b64 v[186:189], v209 offset0:128 offset1:144
	;; [unrolled: 1-line block ×5, first 2 shown]
	ds_read_b64 v[64:65], v74
	ds_read_b64 v[62:63], v211
	;; [unrolled: 1-line block ×4, first 2 shown]
	v_lshlrev_b64 v[74:75], 4, v[166:167]
	ds_read2_b64 v[164:167], v203 offset0:128 offset1:144
	ds_read2_b64 v[205:208], v203 offset0:32 offset1:48
	;; [unrolled: 1-line block ×3, first 2 shown]
	v_lshlrev_b64 v[168:169], 4, v[168:169]
	v_sub_nc_u32_e32 v0, v204, v0
	ds_read2_b64 v[213:216], v203 offset0:96 offset1:112
	ds_read2_b64 v[217:220], v203 offset1:16
	ds_read2_b64 v[221:224], v203 offset0:160 offset1:176
	ds_read2_b64 v[225:228], v203 offset0:64 offset1:80
	v_mul_lo_u32 v203, 0x50, v232
	s_mov_b32 s2, s0
	v_add_co_u32 v168, vcc_lo, s10, v168
	v_lshlrev_b32_e32 v233, 4, v0
	v_sub_nc_u32_e32 v0, v229, v202
	v_add_co_ci_u32_e32 v169, vcc_lo, s11, v169, vcc_lo
	v_add_co_u32 v74, vcc_lo, v168, v74
	v_sub_nc_u32_e32 v168, v230, v203
	v_mad_u64_u32 v[229:230], null, 0x1e0, v231, v[0:1]
	v_mov_b32_e32 v230, v1
	v_add_co_ci_u32_e32 v75, vcc_lo, v169, v75, vcc_lo
	v_add_co_u32 v202, vcc_lo, v74, v233
	v_mad_u64_u32 v[168:169], null, 0x1e0, v232, v[168:169]
	v_add_nc_u32_e32 v0, 0x50, v229
	v_lshlrev_b64 v[235:236], 4, v[229:230]
	v_add_co_ci_u32_e32 v203, vcc_lo, 0, v75, vcc_lo
	v_mov_b32_e32 v169, v1
	v_lshlrev_b64 v[241:242], 4, v[0:1]
	v_add_nc_u32_e32 v0, 0xa0, v229
	v_add_co_u32 v231, vcc_lo, 0x800, v202
	v_add_co_ci_u32_e32 v232, vcc_lo, 0, v203, vcc_lo
	v_lshlrev_b64 v[245:246], 4, v[0:1]
	v_add_nc_u32_e32 v0, 0xf0, v229
	v_add_co_u32 v233, vcc_lo, 0x1000, v202
	v_lshlrev_b64 v[239:240], 4, v[168:169]
	v_add_co_ci_u32_e32 v234, vcc_lo, 0, v203, vcc_lo
	v_add_co_u32 v235, vcc_lo, v74, v235
	v_add_co_ci_u32_e32 v236, vcc_lo, v75, v236, vcc_lo
	v_add_co_u32 v239, vcc_lo, v74, v239
	;; [unrolled: 2-line block ×3, first 2 shown]
	v_add_co_ci_u32_e32 v242, vcc_lo, v75, v242, vcc_lo
	v_mul_hi_u32 v250, 0xcccccccd, v249
	s_waitcnt vmcnt(24) lgkmcnt(16)
	v_mul_f64 v[237:238], v[78:79], v[184:185]
	v_mul_f64 v[184:185], v[76:77], v[184:185]
	s_waitcnt vmcnt(23)
	v_mul_f64 v[243:244], v[82:83], v[182:183]
	v_mul_f64 v[182:183], v[80:81], v[182:183]
	s_waitcnt vmcnt(22) lgkmcnt(6)
	v_mul_f64 v[247:248], v[86:87], v[166:167]
	v_fma_f64 v[76:77], v[56:57], v[76:77], -v[237:238]
	v_fma_f64 v[56:57], v[56:57], v[78:79], v[184:185]
	v_mul_f64 v[78:79], v[84:85], v[166:167]
	s_waitcnt vmcnt(21)
	v_mul_f64 v[166:167], v[90:91], v[164:165]
	v_mul_f64 v[164:165], v[88:89], v[164:165]
	v_fma_f64 v[80:81], v[54:55], v[80:81], -v[243:244]
	v_fma_f64 v[54:55], v[54:55], v[82:83], v[182:183]
	s_waitcnt vmcnt(20)
	v_mul_f64 v[82:83], v[198:199], v[94:95]
	v_mul_f64 v[94:95], v[6:7], v[94:95]
	v_lshlrev_b64 v[184:185], 4, v[0:1]
	v_add_nc_u32_e32 v0, 0x140, v229
	v_fma_f64 v[84:85], v[60:61], v[84:85], -v[247:248]
	v_add_co_u32 v182, vcc_lo, v74, v245
	v_add_co_ci_u32_e32 v183, vcc_lo, v75, v246, vcc_lo
	v_lshlrev_b64 v[237:238], 4, v[0:1]
	v_add_nc_u32_e32 v0, 0x190, v229
	s_waitcnt vmcnt(19) lgkmcnt(0)
	v_mul_f64 v[229:230], v[98:99], v[225:226]
	v_mul_f64 v[225:226], v[96:97], v[225:226]
	v_add_co_u32 v184, vcc_lo, v74, v184
	v_add_co_ci_u32_e32 v185, vcc_lo, v75, v185, vcc_lo
	v_fma_f64 v[60:61], v[60:61], v[86:87], v[78:79]
	s_waitcnt vmcnt(18)
	v_mul_f64 v[86:87], v[16:17], v[102:103]
	v_fma_f64 v[88:89], v[58:59], v[88:89], -v[166:167]
	v_fma_f64 v[58:59], v[58:59], v[90:91], v[164:165]
	v_mul_f64 v[90:91], v[4:5], v[102:103]
	s_waitcnt vmcnt(17)
	v_mul_f64 v[102:103], v[106:107], v[207:208]
	s_waitcnt vmcnt(16)
	v_mul_f64 v[164:165], v[110:111], v[211:212]
	v_fma_f64 v[6:7], v[6:7], v[92:93], -v[82:83]
	v_fma_f64 v[82:83], v[92:93], v[198:199], v[94:95]
	v_mul_f64 v[92:93], v[108:109], v[211:212]
	v_mul_f64 v[166:167], v[104:105], v[207:208]
	v_lshlrev_b64 v[78:79], 4, v[0:1]
	v_add_co_u32 v198, vcc_lo, v74, v237
	v_add_co_ci_u32_e32 v199, vcc_lo, v75, v238, vcc_lo
	v_fma_f64 v[94:95], v[30:31], v[96:97], -v[229:230]
	v_fma_f64 v[30:31], v[30:31], v[98:99], v[225:226]
	s_waitcnt vmcnt(15)
	v_mul_f64 v[96:97], v[114:115], v[188:189]
	v_add_co_u32 v207, vcc_lo, 0x1800, v202
	v_add_co_ci_u32_e32 v208, vcc_lo, 0, v203, vcc_lo
	v_fma_f64 v[4:5], v[4:5], v[100:101], -v[86:87]
	v_mul_f64 v[86:87], v[112:113], v[188:189]
	s_waitcnt vmcnt(9)
	v_mul_f64 v[188:189], v[138:139], v[190:191]
	v_fma_f64 v[16:17], v[100:101], v[16:17], v[90:91]
	v_mul_f64 v[90:91], v[118:119], v[192:193]
	v_fma_f64 v[98:99], v[48:49], v[104:105], -v[102:103]
	v_mul_f64 v[100:101], v[122:123], v[215:216]
	v_mul_f64 v[102:103], v[116:117], v[192:193]
	v_fma_f64 v[104:105], v[52:53], v[108:109], -v[164:165]
	v_fma_f64 v[52:53], v[52:53], v[110:111], v[92:93]
	v_mul_f64 v[92:93], v[120:121], v[215:216]
	v_add_co_u32 v164, vcc_lo, v74, v78
	v_fma_f64 v[48:49], v[48:49], v[106:107], v[166:167]
	v_add_co_ci_u32_e32 v165, vcc_lo, v75, v79, vcc_lo
	v_mul_f64 v[78:79], v[126:127], v[205:206]
	v_mul_f64 v[106:107], v[124:125], v[205:206]
	;; [unrolled: 1-line block ×6, first 2 shown]
	s_waitcnt vmcnt(8)
	v_mul_f64 v[192:193], v[142:143], v[213:214]
	v_mul_f64 v[205:206], v[140:141], v[213:214]
	s_waitcnt vmcnt(7)
	v_mul_f64 v[209:210], v[146:147], v[196:197]
	s_waitcnt vmcnt(1)
	v_mul_f64 v[213:214], v[176:177], v[221:222]
	v_fma_f64 v[90:91], v[36:37], v[116:117], -v[90:91]
	v_mul_f64 v[116:117], v[158:159], v[200:201]
	v_fma_f64 v[100:101], v[44:45], v[120:121], -v[100:101]
	v_fma_f64 v[36:37], v[36:37], v[118:119], v[102:103]
	v_mul_f64 v[118:119], v[156:157], v[200:201]
	v_mul_f64 v[200:201], v[170:171], v[217:218]
	v_fma_f64 v[44:45], v[44:45], v[122:123], v[92:93]
	v_mul_f64 v[92:93], v[144:145], v[196:197]
	v_mul_f64 v[196:197], v[172:173], v[217:218]
	;; [unrolled: 1-line block ×4, first 2 shown]
	v_fma_f64 v[96:97], v[40:41], v[112:113], -v[96:97]
	v_fma_f64 v[40:41], v[40:41], v[114:115], v[86:87]
	v_mul_f64 v[86:87], v[150:151], v[219:220]
	v_mul_f64 v[112:113], v[154:155], v[223:224]
	;; [unrolled: 1-line block ×6, first 2 shown]
	s_waitcnt vmcnt(0)
	v_mul_f64 v[217:218], v[180:181], v[194:195]
	v_mul_f64 v[194:195], v[178:179], v[194:195]
	v_fma_f64 v[132:133], v[38:39], v[132:133], -v[166:167]
	v_fma_f64 v[78:79], v[46:47], v[124:125], -v[78:79]
	;; [unrolled: 1-line block ×3, first 2 shown]
	v_fma_f64 v[46:47], v[46:47], v[126:127], v[106:107]
	v_fma_f64 v[50:51], v[50:51], v[130:131], v[110:111]
	;; [unrolled: 1-line block ×3, first 2 shown]
	v_fma_f64 v[106:107], v[34:35], v[136:137], -v[188:189]
	v_fma_f64 v[110:111], v[42:43], v[140:141], -v[192:193]
	;; [unrolled: 1-line block ×3, first 2 shown]
	v_fma_f64 v[12:13], v[12:13], v[146:147], v[92:93]
	v_fma_f64 v[92:93], v[8:9], v[156:157], -v[116:117]
	v_fma_f64 v[8:9], v[8:9], v[158:159], v[118:119]
	v_fma_f64 v[116:117], v[22:23], v[170:171], -v[196:197]
	v_fma_f64 v[118:119], v[26:27], v[174:175], -v[213:214]
	v_fma_f64 v[22:23], v[22:23], v[172:173], v[200:201]
	v_fma_f64 v[26:27], v[26:27], v[176:177], v[215:216]
	;; [unrolled: 1-line block ×3, first 2 shown]
	v_fma_f64 v[86:87], v[24:25], v[148:149], -v[86:87]
	v_fma_f64 v[112:113], v[28:29], v[152:153], -v[112:113]
	v_fma_f64 v[24:25], v[24:25], v[150:151], v[102:103]
	v_fma_f64 v[28:29], v[28:29], v[154:155], v[114:115]
	;; [unrolled: 1-line block ×3, first 2 shown]
	v_fma_f64 v[102:103], v[32:33], v[160:161], -v[120:121]
	v_fma_f64 v[32:33], v[32:33], v[162:163], v[122:123]
	v_add_f64 v[122:123], v[82:83], v[30:31]
	v_add_f64 v[126:127], v[76:77], v[84:85]
	;; [unrolled: 1-line block ×3, first 2 shown]
	v_fma_f64 v[114:115], v[10:11], v[178:179], -v[217:218]
	v_fma_f64 v[10:11], v[10:11], v[180:181], v[194:195]
	v_add_f64 v[128:129], v[56:57], -v[60:61]
	v_add_f64 v[130:131], v[76:77], -v[84:85]
	v_add_f64 v[136:137], v[82:83], v[72:73]
	v_add_f64 v[56:57], v[16:17], v[56:57]
	;; [unrolled: 1-line block ×5, first 2 shown]
	v_add_f64 v[148:149], v[98:99], -v[104:105]
	v_add_f64 v[150:151], v[48:49], v[52:53]
	v_add_f64 v[98:99], v[96:97], v[98:99]
	v_add_f64 v[156:157], v[90:91], -v[100:101]
	v_add_f64 v[160:161], v[78:79], v[108:109]
	v_add_f64 v[162:163], v[46:47], -v[50:51]
	v_add_f64 v[166:167], v[78:79], -v[108:109]
	v_add_f64 v[169:170], v[46:47], v[50:51]
	v_add_f64 v[46:47], v[38:39], v[46:47]
	v_add_f64 v[173:174], v[90:91], v[100:101]
	v_add_f64 v[90:91], v[68:69], v[90:91]
	v_add_f64 v[78:79], v[132:133], v[78:79]
	v_add_f64 v[175:176], v[106:107], -v[110:111]
	v_add_f64 v[194:195], v[106:107], v[110:111]
	v_add_f64 v[106:107], v[66:67], v[106:107]
	;; [unrolled: 1-line block ×4, first 2 shown]
	v_add_f64 v[140:141], v[80:81], -v[88:89]
	v_add_f64 v[146:147], v[48:49], -v[52:53]
	v_add_f64 v[152:153], v[54:55], v[14:15]
	v_add_f64 v[48:49], v[40:41], v[48:49]
	;; [unrolled: 1-line block ×5, first 2 shown]
	v_add_f64 v[186:187], v[24:25], -v[28:29]
	v_add_f64 v[190:191], v[24:25], v[28:29]
	v_add_f64 v[192:193], v[34:35], v[62:63]
	;; [unrolled: 1-line block ×3, first 2 shown]
	v_add_f64 v[120:121], v[6:7], -v[94:95]
	v_add_f64 v[6:7], v[70:71], v[6:7]
	v_add_f64 v[142:143], v[54:55], v[58:59]
	;; [unrolled: 1-line block ×5, first 2 shown]
	v_add_f64 v[188:189], v[86:87], -v[112:113]
	v_add_f64 v[86:87], v[124:125], v[86:87]
	v_fma_f64 v[72:73], v[122:123], -0.5, v[72:73]
	v_fma_f64 v[4:5], v[126:127], -0.5, v[4:5]
	;; [unrolled: 1-line block ×3, first 2 shown]
	v_add_f64 v[196:197], v[92:93], -v[102:103]
	v_add_f64 v[200:201], v[8:9], v[32:33]
	v_add_f64 v[217:218], v[8:9], v[20:21]
	;; [unrolled: 1-line block ×3, first 2 shown]
	v_add_f64 v[223:224], v[8:9], -v[32:33]
	v_add_f64 v[8:9], v[18:19], v[92:93]
	v_add_f64 v[92:93], v[114:115], v[116:117]
	v_add_f64 v[82:83], v[82:83], -v[30:31]
	v_add_f64 v[34:35], v[34:35], -v[42:43]
	v_add_f64 v[209:210], v[22:23], -v[26:27]
	v_add_f64 v[213:214], v[116:117], -v[118:119]
	v_add_f64 v[22:23], v[10:11], v[22:23]
	v_add_f64 v[30:31], v[30:31], v[136:137]
	;; [unrolled: 1-line block ×3, first 2 shown]
	v_fma_f64 v[60:61], v[138:139], -0.5, v[70:71]
	v_add_f64 v[70:71], v[76:77], v[84:85]
	v_fma_f64 v[76:77], v[144:145], -0.5, v[96:97]
	v_fma_f64 v[40:41], v[150:151], -0.5, v[40:41]
	v_add_f64 v[84:85], v[98:99], v[104:105]
	v_add_f64 v[46:47], v[46:47], v[50:51]
	v_fma_f64 v[50:51], v[173:174], -0.5, v[68:69]
	v_add_f64 v[68:69], v[90:91], v[100:101]
	v_add_f64 v[78:79], v[78:79], v[108:109]
	v_fma_f64 v[66:67], v[194:195], -0.5, v[66:67]
	v_add_f64 v[98:99], v[106:107], v[110:111]
	v_fma_f64 v[104:105], v[205:206], -0.5, v[114:115]
	v_fma_f64 v[106:107], v[215:216], -0.5, v[10:11]
	v_add_f64 v[54:55], v[54:55], -v[58:59]
	v_add_f64 v[58:59], v[58:59], v[152:153]
	v_add_f64 v[48:49], v[48:49], v[52:53]
	v_fma_f64 v[52:53], v[154:155], -0.5, v[2:3]
	v_add_f64 v[80:81], v[80:81], v[88:89]
	v_fma_f64 v[64:65], v[158:159], -0.5, v[64:65]
	v_fma_f64 v[88:89], v[160:161], -0.5, v[132:133]
	v_fma_f64 v[38:39], v[169:170], -0.5, v[38:39]
	v_add_f64 v[42:43], v[42:43], v[192:193]
	v_add_f64 v[96:97], v[24:25], v[28:29]
	v_add_f64 v[36:37], v[36:37], -v[44:45]
	v_add_f64 v[6:7], v[6:7], v[94:95]
	v_fma_f64 v[14:15], v[142:143], -0.5, v[14:15]
	v_add_f64 v[44:45], v[44:45], v[171:172]
	v_fma_f64 v[62:63], v[177:178], -0.5, v[62:63]
	v_fma_f64 v[90:91], v[179:180], -0.5, v[124:125]
	;; [unrolled: 1-line block ×3, first 2 shown]
	v_add_f64 v[86:87], v[86:87], v[112:113]
	v_fma_f64 v[114:115], v[120:121], s[0:1], v[72:73]
	v_fma_f64 v[72:73], v[120:121], s[2:3], v[72:73]
	;; [unrolled: 1-line block ×4, first 2 shown]
	v_add_f64 v[92:93], v[92:93], v[118:119]
	v_fma_f64 v[116:117], v[128:129], s[2:3], v[4:5]
	v_fma_f64 v[118:119], v[130:131], s[0:1], v[16:17]
	v_add_f64 v[110:111], v[22:23], v[26:27]
	v_fma_f64 v[112:113], v[221:222], -0.5, v[18:19]
	v_add_f64 v[102:103], v[8:9], v[102:103]
	v_add_f64 v[4:5], v[30:31], -v[56:57]
	v_fma_f64 v[124:125], v[82:83], s[2:3], v[60:61]
	v_fma_f64 v[60:61], v[82:83], s[0:1], v[60:61]
	v_add_f64 v[8:9], v[30:31], v[56:57]
	v_fma_f64 v[56:57], v[146:147], s[2:3], v[76:77]
	v_fma_f64 v[82:83], v[148:149], s[0:1], v[40:41]
	;; [unrolled: 1-line block ×4, first 2 shown]
	v_add_f64 v[18:19], v[68:69], -v[78:79]
	v_add_f64 v[22:23], v[68:69], v[78:79]
	v_fma_f64 v[146:147], v[34:35], s[2:3], v[66:67]
	v_fma_f64 v[148:149], v[34:35], s[0:1], v[66:67]
	;; [unrolled: 1-line block ×4, first 2 shown]
	v_fma_f64 v[100:101], v[200:201], -0.5, v[20:21]
	v_add_f64 v[108:109], v[32:33], v[217:218]
	v_add_f64 v[12:13], v[58:59], -v[48:49]
	v_fma_f64 v[130:131], v[54:55], s[2:3], v[52:53]
	v_fma_f64 v[132:133], v[54:55], s[0:1], v[52:53]
	v_add_f64 v[16:17], v[58:59], v[48:49]
	v_fma_f64 v[134:135], v[156:157], s[0:1], v[64:65]
	v_fma_f64 v[136:137], v[156:157], s[2:3], v[64:65]
	;; [unrolled: 1-line block ×4, first 2 shown]
	v_add_f64 v[28:29], v[42:43], -v[96:97]
	v_add_f64 v[32:33], v[42:43], v[96:97]
	v_fma_f64 v[42:43], v[209:210], s[2:3], v[104:105]
	v_fma_f64 v[64:65], v[213:214], s[0:1], v[106:107]
	v_add_f64 v[2:3], v[6:7], -v[70:71]
	v_add_f64 v[6:7], v[6:7], v[70:71]
	v_fma_f64 v[70:71], v[140:141], s[0:1], v[14:15]
	v_fma_f64 v[126:127], v[140:141], s[2:3], v[14:15]
	v_fma_f64 v[48:49], v[162:163], s[2:3], v[88:89]
	v_fma_f64 v[52:53], v[166:167], s[0:1], v[38:39]
	v_add_f64 v[20:21], v[44:45], -v[46:47]
	v_fma_f64 v[138:139], v[36:37], s[2:3], v[50:51]
	v_fma_f64 v[140:141], v[36:37], s[0:1], v[50:51]
	v_add_f64 v[24:25], v[44:45], v[46:47]
	v_fma_f64 v[142:143], v[175:176], s[0:1], v[62:63]
	v_fma_f64 v[44:45], v[186:187], s[2:3], v[90:91]
	;; [unrolled: 1-line block ×6, first 2 shown]
	v_add_f64 v[26:27], v[98:99], -v[86:87]
	v_add_f64 v[30:31], v[98:99], v[86:87]
	v_mul_f64 v[86:87], v[122:123], s[2:3]
	v_mul_f64 v[90:91], v[120:121], s[0:1]
	v_mul_f64 v[78:79], v[118:119], -0.5
	v_mul_f64 v[88:89], v[116:117], -0.5
	v_mul_f64 v[98:99], v[76:77], s[2:3]
	v_mul_f64 v[158:159], v[68:69], s[2:3]
	;; [unrolled: 1-line block ×3, first 2 shown]
	v_add_f64 v[10:11], v[80:81], -v[84:85]
	v_add_f64 v[14:15], v[80:81], v[84:85]
	v_fma_f64 v[80:81], v[196:197], s[0:1], v[100:101]
	v_fma_f64 v[84:85], v[196:197], s[2:3], v[100:101]
	v_add_f64 v[36:37], v[108:109], -v[110:111]
	v_add_f64 v[34:35], v[102:103], -v[92:93]
	v_add_f64 v[40:41], v[108:109], v[110:111]
	v_add_f64 v[38:39], v[102:103], v[92:93]
	v_mul_f64 v[100:101], v[56:57], -0.5
	v_mul_f64 v[102:103], v[128:129], s[0:1]
	v_mul_f64 v[106:107], v[58:59], s[2:3]
	;; [unrolled: 1-line block ×3, first 2 shown]
	v_mul_f64 v[156:157], v[64:65], -0.5
	v_mul_f64 v[160:161], v[42:43], -0.5
	v_fma_f64 v[94:95], v[223:224], s[2:3], v[112:113]
	v_fma_f64 v[96:97], v[223:224], s[0:1], v[112:113]
	v_mul_f64 v[92:93], v[82:83], -0.5
	v_mul_f64 v[104:105], v[52:53], -0.5
	;; [unrolled: 1-line block ×4, first 2 shown]
	v_mul_f64 v[150:151], v[62:63], s[2:3]
	v_mul_f64 v[152:153], v[44:45], -0.5
	v_mul_f64 v[154:155], v[50:51], s[0:1]
	v_fma_f64 v[86:87], v[120:121], 0.5, v[86:87]
	v_fma_f64 v[90:91], v[122:123], 0.5, v[90:91]
	v_fma_f64 v[78:79], v[116:117], s[2:3], v[78:79]
	v_fma_f64 v[88:89], v[118:119], s[0:1], v[88:89]
	v_fma_f64 v[98:99], v[128:129], 0.5, v[98:99]
	v_fma_f64 v[120:121], v[66:67], 0.5, v[158:159]
	;; [unrolled: 1-line block ×3, first 2 shown]
	v_fma_f64 v[82:83], v[82:83], s[0:1], v[100:101]
	v_fma_f64 v[76:77], v[76:77], 0.5, v[102:103]
	v_fma_f64 v[102:103], v[54:55], 0.5, v[106:107]
	;; [unrolled: 1-line block ×3, first 2 shown]
	v_fma_f64 v[110:111], v[42:43], s[2:3], v[156:157]
	v_fma_f64 v[122:123], v[64:65], s[0:1], v[160:161]
	global_store_dwordx4 v[202:203], v[6:9], off
	global_store_dwordx4 v[231:232], v[2:5], off offset:1792
	v_add_nc_u32_e32 v0, 0x50, v168
	v_fma_f64 v[92:93], v[56:57], s[2:3], v[92:93]
	v_fma_f64 v[100:101], v[48:49], s[2:3], v[104:105]
	;; [unrolled: 1-line block ×4, first 2 shown]
	v_fma_f64 v[112:113], v[50:51], 0.5, v[150:151]
	v_fma_f64 v[116:117], v[46:47], s[0:1], v[152:153]
	v_fma_f64 v[118:119], v[62:63], 0.5, v[154:155]
	v_add_f64 v[48:49], v[72:73], v[86:87]
	v_add_f64 v[46:47], v[60:61], v[90:91]
	;; [unrolled: 1-line block ×4, first 2 shown]
	v_add_f64 v[8:9], v[72:73], -v[86:87]
	v_add_f64 v[6:7], v[60:61], -v[90:91]
	;; [unrolled: 1-line block ×4, first 2 shown]
	v_add_f64 v[90:91], v[84:85], v[120:121]
	v_add_f64 v[88:89], v[96:97], v[128:129]
	v_add_f64 v[50:51], v[130:131], -v[82:83]
	v_add_f64 v[58:59], v[130:131], v[82:83]
	v_add_f64 v[82:83], v[84:85], -v[120:121]
	v_add_f64 v[86:87], v[80:81], v[110:111]
	v_add_f64 v[84:85], v[94:95], v[122:123]
	v_add_f64 v[78:79], v[80:81], -v[110:111]
	v_add_f64 v[80:81], v[96:97], -v[128:129]
	;; [unrolled: 1-line block ×3, first 2 shown]
	v_add_f64 v[62:63], v[132:133], v[76:77]
	v_add_f64 v[76:77], v[94:95], -v[122:123]
	v_lshlrev_b64 v[211:212], 4, v[0:1]
	v_add_nc_u32_e32 v0, 0xa0, v168
	v_add_f64 v[52:53], v[70:71], -v[92:93]
	v_add_f64 v[56:57], v[126:127], -v[98:99]
	v_add_f64 v[60:61], v[70:71], v[92:93]
	v_add_f64 v[64:65], v[126:127], v[98:99]
	v_add_f64 v[72:73], v[136:137], -v[102:103]
	v_add_f64 v[70:71], v[140:141], -v[106:107]
	v_add_f64 v[98:99], v[136:137], v[102:103]
	v_add_f64 v[96:97], v[140:141], v[106:107]
	;; [unrolled: 4-line block ×3, first 2 shown]
	v_add_f64 v[108:109], v[146:147], v[116:117]
	v_add_f64 v[112:113], v[148:149], v[118:119]
	v_lshlrev_b64 v[219:220], 4, v[0:1]
	v_add_nc_u32_e32 v0, 0xf0, v168
	global_store_dwordx4 v[202:203], v[46:49], off offset:1280
	global_store_dwordx4 v[231:232], v[42:45], off offset:512
	;; [unrolled: 1-line block ×4, first 2 shown]
	global_store_dwordx4 v[235:236], v[38:41], off
	global_store_dwordx4 v[184:185], v[34:37], off
	;; [unrolled: 1-line block ×7, first 2 shown]
	v_add_co_u32 v2, vcc_lo, v74, v211
	v_lshrrev_b32_e32 v30, 6, v250
	v_lshlrev_b64 v[4:5], 4, v[0:1]
	v_add_co_ci_u32_e32 v3, vcc_lo, v75, v212, vcc_lo
	v_add_nc_u32_e32 v0, 0x140, v168
	v_add_co_u32 v6, vcc_lo, v74, v219
	v_add_co_ci_u32_e32 v7, vcc_lo, v75, v220, vcc_lo
	v_mul_lo_u32 v31, 0x50, v30
	v_add_co_u32 v4, vcc_lo, v74, v4
	v_lshlrev_b64 v[8:9], 4, v[0:1]
	v_add_nc_u32_e32 v0, 0x190, v168
	v_add_co_ci_u32_e32 v5, vcc_lo, v75, v5, vcc_lo
	v_add_f64 v[68:69], v[134:135], -v[100:101]
	v_add_f64 v[66:67], v[138:139], -v[104:105]
	v_add_f64 v[94:95], v[134:135], v[100:101]
	v_add_f64 v[92:93], v[138:139], v[104:105]
	v_add_f64 v[100:101], v[146:147], -v[116:117]
	v_add_f64 v[104:105], v[148:149], -v[118:119]
	global_store_dwordx4 v[2:3], v[112:115], off
	global_store_dwordx4 v[6:7], v[108:111], off
	;; [unrolled: 1-line block ×3, first 2 shown]
	v_lshlrev_b64 v[3:4], 4, v[0:1]
	v_sub_nc_u32_e32 v2, v249, v31
	v_add_co_u32 v7, vcc_lo, v74, v8
	v_add_co_ci_u32_e32 v8, vcc_lo, v75, v9, vcc_lo
	v_mad_u64_u32 v[5:6], null, 0x1e0, v30, v[2:3]
	v_add_co_u32 v2, vcc_lo, v74, v3
	v_add_co_ci_u32_e32 v3, vcc_lo, v75, v4, vcc_lo
	v_add_nc_u32_e32 v4, 64, v204
	v_mov_b32_e32 v6, v1
	v_add_nc_u32_e32 v0, 0x50, v5
	v_mul_hi_u32 v26, 0xcccccccd, v4
	global_store_dwordx4 v[2:3], v[100:103], off
	global_store_dwordx4 v[7:8], v[104:107], off
	v_lshlrev_b64 v[6:7], 4, v[5:6]
	v_lshlrev_b64 v[2:3], 4, v[0:1]
	v_add_nc_u32_e32 v0, 0xa0, v5
	v_lshrrev_b32_e32 v28, 6, v26
	v_add_co_u32 v6, vcc_lo, v74, v6
	v_lshlrev_b64 v[8:9], 4, v[0:1]
	v_add_nc_u32_e32 v0, 0xf0, v5
	v_mul_lo_u32 v29, 0x50, v28
	v_add_co_ci_u32_e32 v7, vcc_lo, v75, v7, vcc_lo
	v_add_co_u32 v2, vcc_lo, v74, v2
	v_lshlrev_b64 v[26:27], 4, v[0:1]
	v_add_nc_u32_e32 v0, 0x140, v5
	v_add_co_ci_u32_e32 v3, vcc_lo, v75, v3, vcc_lo
	global_store_dwordx4 v[6:7], v[22:25], off
	global_store_dwordx4 v[2:3], v[96:99], off
	v_sub_nc_u32_e32 v2, v4, v29
	v_lshlrev_b64 v[3:4], 4, v[0:1]
	v_add_co_u32 v8, vcc_lo, v74, v8
	v_add_nc_u32_e32 v0, 0x190, v5
	v_add_co_ci_u32_e32 v9, vcc_lo, v75, v9, vcc_lo
	v_mad_u64_u32 v[5:6], null, 0x1e0, v28, v[2:3]
	v_mov_b32_e32 v6, v1
	v_add_co_u32 v7, vcc_lo, v74, v26
	v_lshlrev_b64 v[22:23], 4, v[0:1]
	global_store_dwordx4 v[8:9], v[92:95], off
	v_add_co_ci_u32_e32 v8, vcc_lo, v75, v27, vcc_lo
	v_add_co_u32 v2, vcc_lo, v74, v3
	v_lshlrev_b64 v[24:25], 4, v[5:6]
	v_add_nc_u32_e32 v0, 0x50, v5
	v_add_co_ci_u32_e32 v3, vcc_lo, v75, v4, vcc_lo
	v_add_co_u32 v22, vcc_lo, v74, v22
	v_add_co_ci_u32_e32 v23, vcc_lo, v75, v23, vcc_lo
	v_lshlrev_b64 v[26:27], 4, v[0:1]
	v_add_nc_u32_e32 v0, 0xa0, v5
	v_add_co_u32 v24, vcc_lo, v74, v24
	v_add_co_ci_u32_e32 v25, vcc_lo, v75, v25, vcc_lo
	global_store_dwordx4 v[7:8], v[18:21], off
	global_store_dwordx4 v[2:3], v[70:73], off
	;; [unrolled: 1-line block ×4, first 2 shown]
	v_lshlrev_b64 v[2:3], 4, v[0:1]
	v_add_nc_u32_e32 v0, 0xf0, v5
	v_add_co_u32 v6, vcc_lo, v74, v26
	v_add_co_ci_u32_e32 v7, vcc_lo, v75, v27, vcc_lo
	v_lshlrev_b64 v[8:9], 4, v[0:1]
	v_add_nc_u32_e32 v0, 0x140, v5
	v_add_co_u32 v2, vcc_lo, v74, v2
	v_add_co_ci_u32_e32 v3, vcc_lo, v75, v3, vcc_lo
	;; [unrolled: 4-line block ×3, first 2 shown]
	v_lshlrev_b64 v[0:1], 4, v[0:1]
	v_add_co_u32 v8, vcc_lo, v74, v14
	v_add_co_ci_u32_e32 v9, vcc_lo, v75, v15, vcc_lo
	v_add_co_u32 v0, vcc_lo, v74, v0
	v_add_co_ci_u32_e32 v1, vcc_lo, v75, v1, vcc_lo
	global_store_dwordx4 v[6:7], v[62:65], off
	global_store_dwordx4 v[2:3], v[58:61], off
	;; [unrolled: 1-line block ×5, first 2 shown]
.LBB0_23:
	s_endpgm
	.section	.rodata,"a",@progbits
	.p2align	6, 0x0
	.amdhsa_kernel fft_rtc_fwd_len480_factors_10_8_6_wgs_64_tpt_16_halfLds_dp_op_CI_CI_unitstride_sbrr_dirReg
		.amdhsa_group_segment_fixed_size 0
		.amdhsa_private_segment_fixed_size 0
		.amdhsa_kernarg_size 104
		.amdhsa_user_sgpr_count 6
		.amdhsa_user_sgpr_private_segment_buffer 1
		.amdhsa_user_sgpr_dispatch_ptr 0
		.amdhsa_user_sgpr_queue_ptr 0
		.amdhsa_user_sgpr_kernarg_segment_ptr 1
		.amdhsa_user_sgpr_dispatch_id 0
		.amdhsa_user_sgpr_flat_scratch_init 0
		.amdhsa_user_sgpr_private_segment_size 0
		.amdhsa_wavefront_size32 1
		.amdhsa_uses_dynamic_stack 0
		.amdhsa_system_sgpr_private_segment_wavefront_offset 0
		.amdhsa_system_sgpr_workgroup_id_x 1
		.amdhsa_system_sgpr_workgroup_id_y 0
		.amdhsa_system_sgpr_workgroup_id_z 0
		.amdhsa_system_sgpr_workgroup_info 0
		.amdhsa_system_vgpr_workitem_id 0
		.amdhsa_next_free_vgpr 251
		.amdhsa_next_free_sgpr 27
		.amdhsa_reserve_vcc 1
		.amdhsa_reserve_flat_scratch 0
		.amdhsa_float_round_mode_32 0
		.amdhsa_float_round_mode_16_64 0
		.amdhsa_float_denorm_mode_32 3
		.amdhsa_float_denorm_mode_16_64 3
		.amdhsa_dx10_clamp 1
		.amdhsa_ieee_mode 1
		.amdhsa_fp16_overflow 0
		.amdhsa_workgroup_processor_mode 1
		.amdhsa_memory_ordered 1
		.amdhsa_forward_progress 0
		.amdhsa_shared_vgpr_count 0
		.amdhsa_exception_fp_ieee_invalid_op 0
		.amdhsa_exception_fp_denorm_src 0
		.amdhsa_exception_fp_ieee_div_zero 0
		.amdhsa_exception_fp_ieee_overflow 0
		.amdhsa_exception_fp_ieee_underflow 0
		.amdhsa_exception_fp_ieee_inexact 0
		.amdhsa_exception_int_div_zero 0
	.end_amdhsa_kernel
	.text
.Lfunc_end0:
	.size	fft_rtc_fwd_len480_factors_10_8_6_wgs_64_tpt_16_halfLds_dp_op_CI_CI_unitstride_sbrr_dirReg, .Lfunc_end0-fft_rtc_fwd_len480_factors_10_8_6_wgs_64_tpt_16_halfLds_dp_op_CI_CI_unitstride_sbrr_dirReg
                                        ; -- End function
	.section	.AMDGPU.csdata,"",@progbits
; Kernel info:
; codeLenInByte = 15156
; NumSgprs: 29
; NumVgprs: 251
; ScratchSize: 0
; MemoryBound: 1
; FloatMode: 240
; IeeeMode: 1
; LDSByteSize: 0 bytes/workgroup (compile time only)
; SGPRBlocks: 3
; VGPRBlocks: 31
; NumSGPRsForWavesPerEU: 29
; NumVGPRsForWavesPerEU: 251
; Occupancy: 4
; WaveLimiterHint : 1
; COMPUTE_PGM_RSRC2:SCRATCH_EN: 0
; COMPUTE_PGM_RSRC2:USER_SGPR: 6
; COMPUTE_PGM_RSRC2:TRAP_HANDLER: 0
; COMPUTE_PGM_RSRC2:TGID_X_EN: 1
; COMPUTE_PGM_RSRC2:TGID_Y_EN: 0
; COMPUTE_PGM_RSRC2:TGID_Z_EN: 0
; COMPUTE_PGM_RSRC2:TIDIG_COMP_CNT: 0
	.text
	.p2alignl 6, 3214868480
	.fill 48, 4, 3214868480
	.type	__hip_cuid_482da0061ee80595,@object ; @__hip_cuid_482da0061ee80595
	.section	.bss,"aw",@nobits
	.globl	__hip_cuid_482da0061ee80595
__hip_cuid_482da0061ee80595:
	.byte	0                               ; 0x0
	.size	__hip_cuid_482da0061ee80595, 1

	.ident	"AMD clang version 19.0.0git (https://github.com/RadeonOpenCompute/llvm-project roc-6.4.0 25133 c7fe45cf4b819c5991fe208aaa96edf142730f1d)"
	.section	".note.GNU-stack","",@progbits
	.addrsig
	.addrsig_sym __hip_cuid_482da0061ee80595
	.amdgpu_metadata
---
amdhsa.kernels:
  - .args:
      - .actual_access:  read_only
        .address_space:  global
        .offset:         0
        .size:           8
        .value_kind:     global_buffer
      - .offset:         8
        .size:           8
        .value_kind:     by_value
      - .actual_access:  read_only
        .address_space:  global
        .offset:         16
        .size:           8
        .value_kind:     global_buffer
      - .actual_access:  read_only
        .address_space:  global
        .offset:         24
        .size:           8
        .value_kind:     global_buffer
      - .actual_access:  read_only
        .address_space:  global
        .offset:         32
        .size:           8
        .value_kind:     global_buffer
      - .offset:         40
        .size:           8
        .value_kind:     by_value
      - .actual_access:  read_only
        .address_space:  global
        .offset:         48
        .size:           8
        .value_kind:     global_buffer
      - .actual_access:  read_only
        .address_space:  global
        .offset:         56
        .size:           8
        .value_kind:     global_buffer
      - .offset:         64
        .size:           4
        .value_kind:     by_value
      - .actual_access:  read_only
        .address_space:  global
        .offset:         72
        .size:           8
        .value_kind:     global_buffer
      - .actual_access:  read_only
        .address_space:  global
        .offset:         80
        .size:           8
        .value_kind:     global_buffer
      - .actual_access:  read_only
        .address_space:  global
        .offset:         88
        .size:           8
        .value_kind:     global_buffer
      - .actual_access:  write_only
        .address_space:  global
        .offset:         96
        .size:           8
        .value_kind:     global_buffer
    .group_segment_fixed_size: 0
    .kernarg_segment_align: 8
    .kernarg_segment_size: 104
    .language:       OpenCL C
    .language_version:
      - 2
      - 0
    .max_flat_workgroup_size: 64
    .name:           fft_rtc_fwd_len480_factors_10_8_6_wgs_64_tpt_16_halfLds_dp_op_CI_CI_unitstride_sbrr_dirReg
    .private_segment_fixed_size: 0
    .sgpr_count:     29
    .sgpr_spill_count: 0
    .symbol:         fft_rtc_fwd_len480_factors_10_8_6_wgs_64_tpt_16_halfLds_dp_op_CI_CI_unitstride_sbrr_dirReg.kd
    .uniform_work_group_size: 1
    .uses_dynamic_stack: false
    .vgpr_count:     251
    .vgpr_spill_count: 0
    .wavefront_size: 32
    .workgroup_processor_mode: 1
amdhsa.target:   amdgcn-amd-amdhsa--gfx1030
amdhsa.version:
  - 1
  - 2
...

	.end_amdgpu_metadata
